;; amdgpu-corpus repo=ROCm/rocm-libraries kind=compiled arch=gfx1250 opt=O3
	.amdgcn_target "amdgcn-amd-amdhsa--gfx1250"
	.amdhsa_code_object_version 6
	.text
	.protected	check_numerics_fp32     ; -- Begin function check_numerics_fp32
	.globl	check_numerics_fp32
	.p2align	8
	.type	check_numerics_fp32,@function
check_numerics_fp32:                    ; @check_numerics_fp32
; %bb.0:
	s_load_b32 s8, s[0:1], 0x20
	s_bfe_u32 s2, ttmp6, 0x4000c
	s_and_b32 s3, ttmp6, 15
	s_add_co_i32 s2, s2, 1
	s_getreg_b32 s4, hwreg(HW_REG_IB_STS2, 6, 4)
	s_mul_i32 s2, ttmp9, s2
	v_dual_mov_b32 v7, 0 :: v_dual_mov_b32 v4, 0x7f7fffff
	s_add_co_i32 s3, s3, s2
	s_cmp_eq_u32 s4, 0
	s_add_nc_u64 s[4:5], s[0:1], 32
	s_cselect_b32 s9, ttmp9, s3
	s_mov_b32 s3, 0
	v_dual_mov_b32 v5, 0x800000 :: v_dual_mov_b32 v2, v7
	v_mov_b32_e32 v3, v7
	s_wait_kmcnt 0x0
	s_cmp_lt_u32 s9, s8
	s_cselect_b32 s2, 12, 18
	s_delay_alu instid0(SALU_CYCLE_1)
	s_add_nc_u64 s[10:11], s[4:5], s[2:3]
	s_load_u16 s2, s[10:11], 0x0
	s_load_b128 s[4:7], s[0:1], 0x8
	s_wait_xcnt 0x0
	s_mov_b32 s10, exec_lo
	s_wait_kmcnt 0x0
	v_mad_u32 v6, s9, s2, v0
	s_delay_alu instid0(VALU_DEP_1)
	v_cmpx_gt_u64_e64 s[4:5], v[6:7]
	s_cbranch_execz .LBB0_10
; %bb.1:
	s_load_b64 s[12:13], s[0:1], 0x0
	v_dual_mov_b32 v1, 0 :: v_dual_mov_b32 v4, 0x7f7fffff
	v_dual_mov_b32 v5, 0x800000 :: v_dual_mov_b32 v12, 1
	s_delay_alu instid0(VALU_DEP_2)
	v_dual_mov_b32 v2, 0 :: v_dual_mov_b32 v3, v1
	s_mul_i32 s2, s8, s2
	s_mov_b32 s11, s3
	s_lshl_b64 s[8:9], s[2:3], 2
	s_wait_kmcnt 0x0
	v_lshl_add_u64 v[8:9], v[6:7], 2, s[12:13]
	s_branch .LBB0_3
.LBB0_2:                                ;   in Loop: Header=BB0_3 Depth=1
	s_wait_xcnt 0x0
	s_or_b32 exec_lo, exec_lo, s12
	v_add_nc_u64_e32 v[6:7], s[2:3], v[6:7]
	v_and_b32_e32 v11, 0x7fffffff, v10
	v_dual_max_num_f32 v4, v4, v4 :: v_dual_max_num_f32 v13, v10, v10
	v_max_num_f32_e32 v5, v5, v5
	v_add_nc_u64_e32 v[8:9], s[8:9], v[8:9]
	s_delay_alu instid0(VALU_DEP_4) | instskip(SKIP_1) | instid1(VALU_DEP_4)
	v_pk_add_f32 v[2:3], v[2:3], v[10:11]
	v_cmp_le_u64_e32 vcc_lo, s[4:5], v[6:7]
	v_dual_min_num_f32 v4, v4, v13 :: v_dual_max_num_f32 v5, v5, v13
	s_or_b32 s11, vcc_lo, s11
	s_delay_alu instid0(SALU_CYCLE_1)
	s_and_not1_b32 exec_lo, exec_lo, s11
	s_cbranch_execz .LBB0_9
.LBB0_3:                                ; =>This Inner Loop Header: Depth=1
	global_load_b32 v10, v[8:9], off
	s_mov_b32 s12, exec_lo
	s_wait_loadcnt 0x0
	s_wait_xcnt 0x0
	v_cmpx_eq_f32_e32 0, v10
	s_cbranch_execz .LBB0_5
; %bb.4:                                ;   in Loop: Header=BB0_3 Depth=1
	global_store_b32 v1, v12, s[6:7] offset:16
.LBB0_5:                                ;   in Loop: Header=BB0_3 Depth=1
	s_wait_xcnt 0x0
	s_or_b32 exec_lo, exec_lo, s12
	s_delay_alu instid0(SALU_CYCLE_1)
	s_mov_b32 s12, exec_lo
	v_cmpx_u_f32_e32 v10, v10
	s_cbranch_execz .LBB0_7
; %bb.6:                                ;   in Loop: Header=BB0_3 Depth=1
	global_store_b32 v1, v12, s[6:7] offset:20
.LBB0_7:                                ;   in Loop: Header=BB0_3 Depth=1
	s_wait_xcnt 0x0
	s_or_b32 exec_lo, exec_lo, s12
	v_cmp_class_f32_e64 s13, v10, 0x204
	s_and_saveexec_b32 s12, s13
	s_cbranch_execz .LBB0_2
; %bb.8:                                ;   in Loop: Header=BB0_3 Depth=1
	global_store_b32 v1, v12, s[6:7] offset:24
	s_branch .LBB0_2
.LBB0_9:
	s_or_b32 exec_lo, exec_lo, s11
.LBB0_10:
	s_delay_alu instid0(SALU_CYCLE_1) | instskip(SKIP_4) | instid1(SALU_CYCLE_1)
	s_or_b32 exec_lo, exec_lo, s10
	s_load_b32 s0, s[0:1], 0x18
	s_wait_kmcnt 0x0
	s_bitcmp1_b32 s0, 0
	s_cselect_b32 s0, -1, 0
	s_and_b32 vcc_lo, exec_lo, s0
	s_cbranch_vccz .LBB0_36
; %bb.11:
	v_lshlrev_b32_e32 v1, 4, v0
	s_mov_b32 s0, exec_lo
	ds_store_b128 v1, v[2:5]
	s_wait_storecnt_dscnt 0x0
	s_barrier_signal -1
	s_barrier_wait -1
	v_cmpx_gt_u32_e32 0x80, v0
	s_cbranch_execz .LBB0_13
; %bb.12:
	ds_load_b128 v[2:5], v1 offset:2048
	ds_load_b128 v[6:9], v1
	s_wait_dscnt 0x1
	v_dual_max_num_f32 v4, v4, v4 :: v_dual_max_num_f32 v5, v5, v5
	s_wait_dscnt 0x0
	v_dual_max_num_f32 v8, v8, v8 :: v_dual_max_num_f32 v9, v9, v9
	v_pk_add_f32 v[2:3], v[2:3], v[6:7]
	s_delay_alu instid0(VALU_DEP_2)
	v_dual_min_num_f32 v4, v8, v4 :: v_dual_max_num_f32 v5, v9, v5
	ds_store_b128 v1, v[2:5]
.LBB0_13:
	s_or_b32 exec_lo, exec_lo, s0
	s_delay_alu instid0(SALU_CYCLE_1)
	s_mov_b32 s0, exec_lo
	s_wait_dscnt 0x0
	s_barrier_signal -1
	s_barrier_wait -1
	v_cmpx_gt_u32_e32 64, v0
	s_cbranch_execz .LBB0_15
; %bb.14:
	ds_load_b128 v[2:5], v1 offset:1024
	ds_load_b128 v[6:9], v1
	s_wait_dscnt 0x1
	v_dual_max_num_f32 v4, v4, v4 :: v_dual_max_num_f32 v5, v5, v5
	s_wait_dscnt 0x0
	v_dual_max_num_f32 v8, v8, v8 :: v_dual_max_num_f32 v9, v9, v9
	v_pk_add_f32 v[2:3], v[2:3], v[6:7]
	s_delay_alu instid0(VALU_DEP_2)
	v_dual_min_num_f32 v4, v8, v4 :: v_dual_max_num_f32 v5, v9, v5
	ds_store_b128 v1, v[2:5]
.LBB0_15:
	s_or_b32 exec_lo, exec_lo, s0
	s_delay_alu instid0(SALU_CYCLE_1)
	s_mov_b32 s0, exec_lo
	s_wait_dscnt 0x0
	;; [unrolled: 20-line block ×6, first 2 shown]
	s_barrier_signal -1
	s_barrier_wait -1
	v_cmpx_gt_u32_e32 2, v0
	s_cbranch_execz .LBB0_25
; %bb.24:
	ds_load_b128 v[2:5], v1 offset:32
	ds_load_b128 v[6:9], v1
	s_wait_dscnt 0x1
	v_dual_max_num_f32 v4, v4, v4 :: v_dual_max_num_f32 v5, v5, v5
	s_wait_dscnt 0x0
	v_dual_max_num_f32 v8, v8, v8 :: v_dual_max_num_f32 v9, v9, v9
	v_pk_add_f32 v[2:3], v[2:3], v[6:7]
	s_delay_alu instid0(VALU_DEP_2)
	v_dual_min_num_f32 v4, v8, v4 :: v_dual_max_num_f32 v5, v9, v5
	ds_store_b128 v1, v[2:5]
.LBB0_25:
	s_or_b32 exec_lo, exec_lo, s0
	v_cmp_eq_u32_e32 vcc_lo, 0, v0
	s_wait_dscnt 0x0
	s_barrier_signal -1
	s_barrier_wait -1
	s_and_saveexec_b32 s0, vcc_lo
	s_cbranch_execz .LBB0_27
; %bb.26:
	ds_load_b128 v[2:5], v1 offset:16
	ds_load_b128 v[6:9], v1
	s_wait_dscnt 0x1
	v_dual_max_num_f32 v0, v4, v4 :: v_dual_max_num_f32 v5, v5, v5
	s_wait_dscnt 0x0
	v_dual_max_num_f32 v4, v8, v8 :: v_dual_max_num_f32 v8, v9, v9
	v_pk_add_f32 v[2:3], v[2:3], v[6:7]
	s_delay_alu instid0(VALU_DEP_2) | instskip(NEXT) | instid1(VALU_DEP_3)
	v_min_num_f32_e32 v4, v4, v0
	v_max_num_f32_e32 v5, v8, v5
	ds_store_b128 v1, v[2:5]
.LBB0_27:
	s_or_b32 exec_lo, exec_lo, s0
	s_wait_dscnt 0x0
	s_barrier_signal -1
	s_barrier_wait -1
	s_and_saveexec_b32 s0, vcc_lo
	s_cbranch_execz .LBB0_36
; %bb.28:
	s_mov_b32 s1, exec_lo
	s_mov_b32 s0, exec_lo
	v_mbcnt_lo_u32_b32 v0, s1, 0
	s_delay_alu instid0(VALU_DEP_1)
	v_cmpx_eq_u32_e32 0, v0
	s_cbranch_execz .LBB0_30
; %bb.29:
	s_bcnt1_i32_b32 s1, s1
	s_delay_alu instid0(SALU_CYCLE_1)
	v_cvt_f32_ubyte0_e32 v2, s1
	v_mov_b32_e32 v0, 0
	ds_load_b32 v1, v0
	s_wait_dscnt 0x0
	v_mul_f32_e32 v1, v1, v2
	global_atomic_add_f32 v0, v1, s[6:7] scope:SCOPE_DEV
.LBB0_30:
	s_wait_xcnt 0x0
	s_or_b32 exec_lo, exec_lo, s0
	s_delay_alu instid0(SALU_CYCLE_1) | instskip(SKIP_2) | instid1(VALU_DEP_1)
	s_mov_b32 s1, exec_lo
	s_mov_b32 s0, exec_lo
	v_mbcnt_lo_u32_b32 v0, s1, 0
	v_cmpx_eq_u32_e32 0, v0
	s_cbranch_execz .LBB0_32
; %bb.31:
	s_bcnt1_i32_b32 s1, s1
	s_delay_alu instid0(SALU_CYCLE_1)
	v_cvt_f32_ubyte0_e32 v2, s1
	v_mov_b32_e32 v0, 0
	ds_load_b32 v1, v0 offset:4
	s_wait_dscnt 0x0
	v_mul_f32_e32 v1, v1, v2
	global_atomic_add_f32 v0, v1, s[6:7] offset:4 scope:SCOPE_DEV
.LBB0_32:
	s_wait_xcnt 0x0
	s_or_b32 exec_lo, exec_lo, s0
	s_delay_alu instid0(SALU_CYCLE_1) | instskip(SKIP_1) | instid1(VALU_DEP_1)
	v_mbcnt_lo_u32_b32 v0, exec_lo, 0
	s_mov_b32 s0, exec_lo
	v_cmpx_eq_u32_e32 0, v0
	s_cbranch_execz .LBB0_34
; %bb.33:
	v_mov_b32_e32 v0, 0
	ds_load_b32 v1, v0 offset:8
	s_wait_dscnt 0x0
	global_atomic_min_num_f32 v0, v1, s[6:7] offset:8 scope:SCOPE_DEV
.LBB0_34:
	s_wait_xcnt 0x0
	s_or_b32 exec_lo, exec_lo, s0
	s_delay_alu instid0(SALU_CYCLE_1) | instskip(NEXT) | instid1(VALU_DEP_1)
	v_mbcnt_lo_u32_b32 v0, exec_lo, 0
	v_cmp_eq_u32_e32 vcc_lo, 0, v0
	s_and_b32 exec_lo, exec_lo, vcc_lo
	s_cbranch_execz .LBB0_36
; %bb.35:
	v_mov_b32_e32 v0, 0
	ds_load_b32 v1, v0 offset:12
	s_wait_dscnt 0x0
	global_atomic_max_num_f32 v0, v1, s[6:7] offset:12 scope:SCOPE_DEV
.LBB0_36:
	s_endpgm
	.section	.rodata,"a",@progbits
	.p2align	6, 0x0
	.amdhsa_kernel check_numerics_fp32
		.amdhsa_group_segment_fixed_size 4096
		.amdhsa_private_segment_fixed_size 0
		.amdhsa_kernarg_size 288
		.amdhsa_user_sgpr_count 2
		.amdhsa_user_sgpr_dispatch_ptr 0
		.amdhsa_user_sgpr_queue_ptr 0
		.amdhsa_user_sgpr_kernarg_segment_ptr 1
		.amdhsa_user_sgpr_dispatch_id 0
		.amdhsa_user_sgpr_kernarg_preload_length 0
		.amdhsa_user_sgpr_kernarg_preload_offset 0
		.amdhsa_user_sgpr_private_segment_size 0
		.amdhsa_wavefront_size32 1
		.amdhsa_uses_dynamic_stack 0
		.amdhsa_enable_private_segment 0
		.amdhsa_system_sgpr_workgroup_id_x 1
		.amdhsa_system_sgpr_workgroup_id_y 0
		.amdhsa_system_sgpr_workgroup_id_z 0
		.amdhsa_system_sgpr_workgroup_info 0
		.amdhsa_system_vgpr_workitem_id 0
		.amdhsa_next_free_vgpr 14
		.amdhsa_next_free_sgpr 14
		.amdhsa_named_barrier_count 0
		.amdhsa_reserve_vcc 1
		.amdhsa_float_round_mode_32 0
		.amdhsa_float_round_mode_16_64 0
		.amdhsa_float_denorm_mode_32 3
		.amdhsa_float_denorm_mode_16_64 3
		.amdhsa_fp16_overflow 0
		.amdhsa_memory_ordered 1
		.amdhsa_forward_progress 1
		.amdhsa_inst_pref_size 13
		.amdhsa_round_robin_scheduling 0
		.amdhsa_exception_fp_ieee_invalid_op 0
		.amdhsa_exception_fp_denorm_src 0
		.amdhsa_exception_fp_ieee_div_zero 0
		.amdhsa_exception_fp_ieee_overflow 0
		.amdhsa_exception_fp_ieee_underflow 0
		.amdhsa_exception_fp_ieee_inexact 0
		.amdhsa_exception_int_div_zero 0
	.end_amdhsa_kernel
	.text
.Lfunc_end0:
	.size	check_numerics_fp32, .Lfunc_end0-check_numerics_fp32
                                        ; -- End function
	.set check_numerics_fp32.num_vgpr, 14
	.set check_numerics_fp32.num_agpr, 0
	.set check_numerics_fp32.numbered_sgpr, 14
	.set check_numerics_fp32.num_named_barrier, 0
	.set check_numerics_fp32.private_seg_size, 0
	.set check_numerics_fp32.uses_vcc, 1
	.set check_numerics_fp32.uses_flat_scratch, 0
	.set check_numerics_fp32.has_dyn_sized_stack, 0
	.set check_numerics_fp32.has_recursion, 0
	.set check_numerics_fp32.has_indirect_call, 0
	.section	.AMDGPU.csdata,"",@progbits
; Kernel info:
; codeLenInByte = 1572
; TotalNumSgprs: 16
; NumVgprs: 14
; ScratchSize: 0
; MemoryBound: 0
; FloatMode: 240
; IeeeMode: 1
; LDSByteSize: 4096 bytes/workgroup (compile time only)
; SGPRBlocks: 0
; VGPRBlocks: 0
; NumSGPRsForWavesPerEU: 16
; NumVGPRsForWavesPerEU: 14
; NamedBarCnt: 0
; Occupancy: 16
; WaveLimiterHint : 0
; COMPUTE_PGM_RSRC2:SCRATCH_EN: 0
; COMPUTE_PGM_RSRC2:USER_SGPR: 2
; COMPUTE_PGM_RSRC2:TRAP_HANDLER: 0
; COMPUTE_PGM_RSRC2:TGID_X_EN: 1
; COMPUTE_PGM_RSRC2:TGID_Y_EN: 0
; COMPUTE_PGM_RSRC2:TGID_Z_EN: 0
; COMPUTE_PGM_RSRC2:TIDIG_COMP_CNT: 0
	.text
	.protected	check_numerics_fp16     ; -- Begin function check_numerics_fp16
	.globl	check_numerics_fp16
	.p2align	8
	.type	check_numerics_fp16,@function
check_numerics_fp16:                    ; @check_numerics_fp16
; %bb.0:
	s_load_b32 s2, s[0:1], 0x20
	s_bfe_u32 s3, ttmp6, 0x4000c
	s_and_b32 s4, ttmp6, 15
	s_add_co_i32 s3, s3, 1
	s_getreg_b32 s5, hwreg(HW_REG_IB_STS2, 6, 4)
	s_mul_i32 s3, ttmp9, s3
	s_mov_b32 s9, 0
	s_add_co_i32 s4, s4, s3
	s_cmp_eq_u32 s5, 0
	v_mov_b32_e32 v7, 0
	s_cselect_b32 s3, ttmp9, s4
	s_add_nc_u64 s[4:5], s[0:1], 32
	s_delay_alu instid0(VALU_DEP_1) | instskip(SKIP_4) | instid1(SALU_CYCLE_1)
	v_dual_mov_b32 v3, v7 :: v_dual_mov_b32 v2, v7
	v_dual_mov_b32 v4, v7 :: v_dual_mov_b32 v5, v7
	s_wait_kmcnt 0x0
	s_cmp_lt_u32 s3, s2
	s_cselect_b32 s8, 12, 18
	s_add_nc_u64 s[10:11], s[4:5], s[8:9]
	s_load_u16 s8, s[10:11], 0x0
	s_load_b128 s[4:7], s[0:1], 0x8
	s_wait_kmcnt 0x0
	v_mad_u32 v6, s3, s8, v0
	s_mov_b32 s3, exec_lo
	s_delay_alu instid0(VALU_DEP_1)
	v_cmpx_gt_u64_e64 s[4:5], v[6:7]
	s_cbranch_execz .LBB1_10
; %bb.1:
	s_load_b64 s[10:11], s[0:1], 0x0
	v_dual_mov_b32 v10, 0 :: v_dual_mov_b32 v1, 0
	v_dual_mov_b32 v11, 1 :: v_dual_mov_b32 v12, 0
	s_delay_alu instid0(VALU_DEP_2)
	v_dual_mov_b32 v2, 0 :: v_dual_mov_b32 v3, v10
	s_mul_i32 s8, s2, s8
	s_mov_b32 s12, s9
	s_wait_kmcnt 0x0
	v_lshl_add_u64 v[4:5], v[6:7], 1, s[10:11]
	s_lshl_b64 s[10:11], s[8:9], 1
	s_branch .LBB1_3
.LBB1_2:                                ;   in Loop: Header=BB1_3 Depth=1
	s_wait_xcnt 0x0
	s_or_b32 exec_lo, exec_lo, s2
	v_add_nc_u64_e32 v[6:7], s[8:9], v[6:7]
	v_cmp_lt_f16_e64 s2, v1, v13
	v_and_b32_e32 v9, 0x7fffffff, v8
	v_add_nc_u64_e32 v[4:5], s[10:11], v[4:5]
	s_delay_alu instid0(VALU_DEP_3) | instskip(SKIP_3) | instid1(VALU_DEP_3)
	v_cndmask_b32_e64 v1, v13, v1, s2
	v_cmp_gt_f16_e64 s2, v12, v13
	v_cmp_le_u64_e32 vcc_lo, s[4:5], v[6:7]
	v_pk_add_f32 v[2:3], v[2:3], v[8:9]
	v_cndmask_b32_e64 v12, v13, v12, s2
	s_or_b32 s12, vcc_lo, s12
	s_delay_alu instid0(SALU_CYCLE_1)
	s_and_not1_b32 exec_lo, exec_lo, s12
	s_cbranch_execz .LBB1_9
.LBB1_3:                                ; =>This Inner Loop Header: Depth=1
	global_load_u16 v13, v[4:5], off
	s_mov_b32 s2, exec_lo
	s_wait_loadcnt 0x0
	s_wait_xcnt 0x0
	v_cmpx_eq_f16_e32 0, v13
	s_cbranch_execz .LBB1_5
; %bb.4:                                ;   in Loop: Header=BB1_3 Depth=1
	global_store_b32 v10, v11, s[6:7] offset:16
.LBB1_5:                                ;   in Loop: Header=BB1_3 Depth=1
	s_wait_xcnt 0x0
	s_or_b32 exec_lo, exec_lo, s2
	s_delay_alu instid0(SALU_CYCLE_1)
	s_mov_b32 s2, exec_lo
	v_cmpx_u_f16_e32 v13, v13
	s_cbranch_execz .LBB1_7
; %bb.6:                                ;   in Loop: Header=BB1_3 Depth=1
	global_store_b32 v10, v11, s[6:7] offset:20
.LBB1_7:                                ;   in Loop: Header=BB1_3 Depth=1
	s_wait_xcnt 0x0
	s_or_b32 exec_lo, exec_lo, s2
	v_cvt_f32_f16_e32 v8, v13
	s_delay_alu instid0(VALU_DEP_1)
	v_cmp_class_f32_e64 s13, v8, 0x204
	s_and_saveexec_b32 s2, s13
	s_cbranch_execz .LBB1_2
; %bb.8:                                ;   in Loop: Header=BB1_3 Depth=1
	global_store_b32 v10, v11, s[6:7] offset:24
	s_branch .LBB1_2
.LBB1_9:
	s_or_b32 exec_lo, exec_lo, s12
	v_cvt_f32_f16_e32 v4, v1
	v_cvt_f32_f16_e32 v5, v12
.LBB1_10:
	s_or_b32 exec_lo, exec_lo, s3
	s_load_b32 s0, s[0:1], 0x18
	s_wait_kmcnt 0x0
	s_bitcmp1_b32 s0, 0
	s_cselect_b32 s0, -1, 0
	s_delay_alu instid0(SALU_CYCLE_1)
	s_and_b32 vcc_lo, exec_lo, s0
	s_cbranch_vccz .LBB1_36
; %bb.11:
	v_lshlrev_b32_e32 v1, 4, v0
	s_mov_b32 s0, exec_lo
	ds_store_b128 v1, v[2:5]
	s_wait_storecnt_dscnt 0x0
	s_barrier_signal -1
	s_barrier_wait -1
	v_cmpx_gt_u32_e32 0x80, v0
	s_cbranch_execz .LBB1_13
; %bb.12:
	ds_load_b128 v[2:5], v1 offset:2048
	ds_load_b128 v[6:9], v1
	s_wait_dscnt 0x1
	v_dual_max_num_f32 v4, v4, v4 :: v_dual_max_num_f32 v5, v5, v5
	s_wait_dscnt 0x0
	v_dual_max_num_f32 v8, v8, v8 :: v_dual_max_num_f32 v9, v9, v9
	v_pk_add_f32 v[2:3], v[2:3], v[6:7]
	s_delay_alu instid0(VALU_DEP_2)
	v_dual_min_num_f32 v4, v8, v4 :: v_dual_max_num_f32 v5, v9, v5
	ds_store_b128 v1, v[2:5]
.LBB1_13:
	s_or_b32 exec_lo, exec_lo, s0
	s_delay_alu instid0(SALU_CYCLE_1)
	s_mov_b32 s0, exec_lo
	s_wait_dscnt 0x0
	s_barrier_signal -1
	s_barrier_wait -1
	v_cmpx_gt_u32_e32 64, v0
	s_cbranch_execz .LBB1_15
; %bb.14:
	ds_load_b128 v[2:5], v1 offset:1024
	ds_load_b128 v[6:9], v1
	s_wait_dscnt 0x1
	v_dual_max_num_f32 v4, v4, v4 :: v_dual_max_num_f32 v5, v5, v5
	s_wait_dscnt 0x0
	v_dual_max_num_f32 v8, v8, v8 :: v_dual_max_num_f32 v9, v9, v9
	v_pk_add_f32 v[2:3], v[2:3], v[6:7]
	s_delay_alu instid0(VALU_DEP_2)
	v_dual_min_num_f32 v4, v8, v4 :: v_dual_max_num_f32 v5, v9, v5
	ds_store_b128 v1, v[2:5]
.LBB1_15:
	s_or_b32 exec_lo, exec_lo, s0
	s_delay_alu instid0(SALU_CYCLE_1)
	s_mov_b32 s0, exec_lo
	s_wait_dscnt 0x0
	;; [unrolled: 20-line block ×6, first 2 shown]
	s_barrier_signal -1
	s_barrier_wait -1
	v_cmpx_gt_u32_e32 2, v0
	s_cbranch_execz .LBB1_25
; %bb.24:
	ds_load_b128 v[2:5], v1 offset:32
	ds_load_b128 v[6:9], v1
	s_wait_dscnt 0x1
	v_dual_max_num_f32 v4, v4, v4 :: v_dual_max_num_f32 v5, v5, v5
	s_wait_dscnt 0x0
	v_dual_max_num_f32 v8, v8, v8 :: v_dual_max_num_f32 v9, v9, v9
	v_pk_add_f32 v[2:3], v[2:3], v[6:7]
	s_delay_alu instid0(VALU_DEP_2)
	v_dual_min_num_f32 v4, v8, v4 :: v_dual_max_num_f32 v5, v9, v5
	ds_store_b128 v1, v[2:5]
.LBB1_25:
	s_or_b32 exec_lo, exec_lo, s0
	v_cmp_eq_u32_e32 vcc_lo, 0, v0
	s_wait_dscnt 0x0
	s_barrier_signal -1
	s_barrier_wait -1
	s_and_saveexec_b32 s0, vcc_lo
	s_cbranch_execz .LBB1_27
; %bb.26:
	ds_load_b128 v[2:5], v1 offset:16
	ds_load_b128 v[6:9], v1
	s_wait_dscnt 0x1
	v_dual_max_num_f32 v0, v4, v4 :: v_dual_max_num_f32 v5, v5, v5
	s_wait_dscnt 0x0
	v_dual_max_num_f32 v4, v8, v8 :: v_dual_max_num_f32 v8, v9, v9
	v_pk_add_f32 v[2:3], v[2:3], v[6:7]
	s_delay_alu instid0(VALU_DEP_2) | instskip(NEXT) | instid1(VALU_DEP_3)
	v_min_num_f32_e32 v4, v4, v0
	v_max_num_f32_e32 v5, v8, v5
	ds_store_b128 v1, v[2:5]
.LBB1_27:
	s_or_b32 exec_lo, exec_lo, s0
	s_wait_dscnt 0x0
	s_barrier_signal -1
	s_barrier_wait -1
	s_and_saveexec_b32 s0, vcc_lo
	s_cbranch_execz .LBB1_36
; %bb.28:
	s_mov_b32 s1, exec_lo
	s_mov_b32 s0, exec_lo
	v_mbcnt_lo_u32_b32 v0, s1, 0
	s_delay_alu instid0(VALU_DEP_1)
	v_cmpx_eq_u32_e32 0, v0
	s_cbranch_execz .LBB1_30
; %bb.29:
	s_bcnt1_i32_b32 s1, s1
	s_delay_alu instid0(SALU_CYCLE_1)
	v_cvt_f32_ubyte0_e32 v2, s1
	v_mov_b32_e32 v0, 0
	ds_load_b32 v1, v0
	s_wait_dscnt 0x0
	v_mul_f32_e32 v1, v1, v2
	global_atomic_add_f32 v0, v1, s[6:7] scope:SCOPE_DEV
.LBB1_30:
	s_wait_xcnt 0x0
	s_or_b32 exec_lo, exec_lo, s0
	s_delay_alu instid0(SALU_CYCLE_1) | instskip(SKIP_2) | instid1(VALU_DEP_1)
	s_mov_b32 s1, exec_lo
	s_mov_b32 s0, exec_lo
	v_mbcnt_lo_u32_b32 v0, s1, 0
	v_cmpx_eq_u32_e32 0, v0
	s_cbranch_execz .LBB1_32
; %bb.31:
	s_bcnt1_i32_b32 s1, s1
	s_delay_alu instid0(SALU_CYCLE_1)
	v_cvt_f32_ubyte0_e32 v2, s1
	v_mov_b32_e32 v0, 0
	ds_load_b32 v1, v0 offset:4
	s_wait_dscnt 0x0
	v_mul_f32_e32 v1, v1, v2
	global_atomic_add_f32 v0, v1, s[6:7] offset:4 scope:SCOPE_DEV
.LBB1_32:
	s_wait_xcnt 0x0
	s_or_b32 exec_lo, exec_lo, s0
	s_delay_alu instid0(SALU_CYCLE_1) | instskip(SKIP_1) | instid1(VALU_DEP_1)
	v_mbcnt_lo_u32_b32 v0, exec_lo, 0
	s_mov_b32 s0, exec_lo
	v_cmpx_eq_u32_e32 0, v0
	s_cbranch_execz .LBB1_34
; %bb.33:
	v_mov_b32_e32 v0, 0
	ds_load_b32 v1, v0 offset:8
	s_wait_dscnt 0x0
	global_atomic_min_num_f32 v0, v1, s[6:7] offset:8 scope:SCOPE_DEV
.LBB1_34:
	s_wait_xcnt 0x0
	s_or_b32 exec_lo, exec_lo, s0
	s_delay_alu instid0(SALU_CYCLE_1) | instskip(NEXT) | instid1(VALU_DEP_1)
	v_mbcnt_lo_u32_b32 v0, exec_lo, 0
	v_cmp_eq_u32_e32 vcc_lo, 0, v0
	s_and_b32 exec_lo, exec_lo, vcc_lo
	s_cbranch_execz .LBB1_36
; %bb.35:
	v_mov_b32_e32 v0, 0
	ds_load_b32 v1, v0 offset:12
	s_wait_dscnt 0x0
	global_atomic_max_num_f32 v0, v1, s[6:7] offset:12 scope:SCOPE_DEV
.LBB1_36:
	s_endpgm
	.section	.rodata,"a",@progbits
	.p2align	6, 0x0
	.amdhsa_kernel check_numerics_fp16
		.amdhsa_group_segment_fixed_size 4096
		.amdhsa_private_segment_fixed_size 0
		.amdhsa_kernarg_size 288
		.amdhsa_user_sgpr_count 2
		.amdhsa_user_sgpr_dispatch_ptr 0
		.amdhsa_user_sgpr_queue_ptr 0
		.amdhsa_user_sgpr_kernarg_segment_ptr 1
		.amdhsa_user_sgpr_dispatch_id 0
		.amdhsa_user_sgpr_kernarg_preload_length 0
		.amdhsa_user_sgpr_kernarg_preload_offset 0
		.amdhsa_user_sgpr_private_segment_size 0
		.amdhsa_wavefront_size32 1
		.amdhsa_uses_dynamic_stack 0
		.amdhsa_enable_private_segment 0
		.amdhsa_system_sgpr_workgroup_id_x 1
		.amdhsa_system_sgpr_workgroup_id_y 0
		.amdhsa_system_sgpr_workgroup_id_z 0
		.amdhsa_system_sgpr_workgroup_info 0
		.amdhsa_system_vgpr_workitem_id 0
		.amdhsa_next_free_vgpr 14
		.amdhsa_next_free_sgpr 14
		.amdhsa_named_barrier_count 0
		.amdhsa_reserve_vcc 1
		.amdhsa_float_round_mode_32 0
		.amdhsa_float_round_mode_16_64 0
		.amdhsa_float_denorm_mode_32 3
		.amdhsa_float_denorm_mode_16_64 3
		.amdhsa_fp16_overflow 0
		.amdhsa_memory_ordered 1
		.amdhsa_forward_progress 1
		.amdhsa_inst_pref_size 13
		.amdhsa_round_robin_scheduling 0
		.amdhsa_exception_fp_ieee_invalid_op 0
		.amdhsa_exception_fp_denorm_src 0
		.amdhsa_exception_fp_ieee_div_zero 0
		.amdhsa_exception_fp_ieee_overflow 0
		.amdhsa_exception_fp_ieee_underflow 0
		.amdhsa_exception_fp_ieee_inexact 0
		.amdhsa_exception_int_div_zero 0
	.end_amdhsa_kernel
	.text
.Lfunc_end1:
	.size	check_numerics_fp16, .Lfunc_end1-check_numerics_fp16
                                        ; -- End function
	.set check_numerics_fp16.num_vgpr, 14
	.set check_numerics_fp16.num_agpr, 0
	.set check_numerics_fp16.numbered_sgpr, 14
	.set check_numerics_fp16.num_named_barrier, 0
	.set check_numerics_fp16.private_seg_size, 0
	.set check_numerics_fp16.uses_vcc, 1
	.set check_numerics_fp16.uses_flat_scratch, 0
	.set check_numerics_fp16.has_dyn_sized_stack, 0
	.set check_numerics_fp16.has_recursion, 0
	.set check_numerics_fp16.has_indirect_call, 0
	.section	.AMDGPU.csdata,"",@progbits
; Kernel info:
; codeLenInByte = 1580
; TotalNumSgprs: 16
; NumVgprs: 14
; ScratchSize: 0
; MemoryBound: 0
; FloatMode: 240
; IeeeMode: 1
; LDSByteSize: 4096 bytes/workgroup (compile time only)
; SGPRBlocks: 0
; VGPRBlocks: 0
; NumSGPRsForWavesPerEU: 16
; NumVGPRsForWavesPerEU: 14
; NamedBarCnt: 0
; Occupancy: 16
; WaveLimiterHint : 0
; COMPUTE_PGM_RSRC2:SCRATCH_EN: 0
; COMPUTE_PGM_RSRC2:USER_SGPR: 2
; COMPUTE_PGM_RSRC2:TRAP_HANDLER: 0
; COMPUTE_PGM_RSRC2:TGID_X_EN: 1
; COMPUTE_PGM_RSRC2:TGID_Y_EN: 0
; COMPUTE_PGM_RSRC2:TGID_Z_EN: 0
; COMPUTE_PGM_RSRC2:TIDIG_COMP_CNT: 0
	.text
	.protected	check_numerics_bf16     ; -- Begin function check_numerics_bf16
	.globl	check_numerics_bf16
	.p2align	8
	.type	check_numerics_bf16,@function
check_numerics_bf16:                    ; @check_numerics_bf16
; %bb.0:
	s_load_b32 s8, s[0:1], 0x20
	s_bfe_u32 s2, ttmp6, 0x4000c
	s_and_b32 s3, ttmp6, 15
	s_add_co_i32 s2, s2, 1
	s_getreg_b32 s4, hwreg(HW_REG_IB_STS2, 6, 4)
	s_mul_i32 s2, ttmp9, s2
	v_mov_b32_e32 v7, 0
	s_add_co_i32 s3, s3, s2
	s_cmp_eq_u32 s4, 0
	s_add_nc_u64 s[4:5], s[0:1], 32
	s_cselect_b32 s9, ttmp9, s3
	s_mov_b32 s3, 0
	v_dual_mov_b32 v5, v7 :: v_dual_mov_b32 v4, v7
	v_dual_mov_b32 v3, v7 :: v_dual_mov_b32 v2, v7
	s_wait_kmcnt 0x0
	s_cmp_lt_u32 s9, s8
	s_cselect_b32 s2, 12, 18
	s_delay_alu instid0(SALU_CYCLE_1)
	s_add_nc_u64 s[10:11], s[4:5], s[2:3]
	s_load_u16 s2, s[10:11], 0x0
	s_load_b128 s[4:7], s[0:1], 0x8
	s_wait_xcnt 0x0
	s_mov_b32 s10, exec_lo
	s_wait_kmcnt 0x0
	v_mad_u32 v6, s9, s2, v0
	s_delay_alu instid0(VALU_DEP_1)
	v_cmpx_gt_u64_e64 s[4:5], v[6:7]
	s_cbranch_execz .LBB2_10
; %bb.1:
	s_load_b64 s[12:13], s[0:1], 0x0
	v_dual_mov_b32 v1, 0 :: v_dual_mov_b32 v11, 0
	v_dual_mov_b32 v10, 1 :: v_dual_mov_b32 v2, 0
	s_mul_i32 s2, s8, s2
	s_delay_alu instid0(VALU_DEP_2)
	v_mov_b32_e32 v3, v1
	s_lshl_b64 s[8:9], s[2:3], 1
	s_mov_b32 s11, s3
	s_wait_kmcnt 0x0
	v_lshl_add_u64 v[4:5], v[6:7], 1, s[12:13]
	s_branch .LBB2_3
.LBB2_2:                                ;   in Loop: Header=BB2_3 Depth=1
	s_wait_xcnt 0x0
	s_or_b32 exec_lo, exec_lo, s12
	v_perm_b32 v9, v9, v11, 0x5040100
	v_and_b32_e32 v13, 0xffff0000, v11
	v_dual_lshlrev_b32 v12, 16, v11 :: v_dual_lshrrev_b32 v14, 16, v11
	v_add_nc_u64_e32 v[6:7], s[2:3], v[6:7]
	s_delay_alu instid0(VALU_DEP_4)
	v_lshrrev_b32_e32 v15, 16, v9
	v_and_b32_e32 v16, 0xffff0000, v9
	v_cmp_lt_f32_e32 vcc_lo, v8, v13
	v_and_b32_e32 v9, 0x7fffffff, v8
	v_add_nc_u64_e32 v[4:5], s[8:9], v[4:5]
	v_cndmask_b32_e32 v13, v15, v14, vcc_lo
	v_cmp_lt_f32_e32 vcc_lo, v12, v16
	s_delay_alu instid0(VALU_DEP_4) | instskip(SKIP_2) | instid1(VALU_DEP_2)
	v_pk_add_f32 v[2:3], v[2:3], v[8:9]
	v_cndmask_b32_e32 v11, v15, v11, vcc_lo
	v_cmp_le_u64_e32 vcc_lo, s[4:5], v[6:7]
	v_perm_b32 v11, v13, v11, 0x5040100
	s_or_b32 s11, vcc_lo, s11
	s_delay_alu instid0(SALU_CYCLE_1)
	s_and_not1_b32 exec_lo, exec_lo, s11
	s_cbranch_execz .LBB2_9
.LBB2_3:                                ; =>This Inner Loop Header: Depth=1
	global_load_u16 v9, v[4:5], off
	s_mov_b32 s12, exec_lo
	s_wait_loadcnt 0x0
	v_lshlrev_b32_e32 v8, 16, v9
	s_wait_xcnt 0x0
	s_delay_alu instid0(VALU_DEP_1)
	v_cmpx_eq_f32_e32 0, v8
	s_cbranch_execz .LBB2_5
; %bb.4:                                ;   in Loop: Header=BB2_3 Depth=1
	global_store_b32 v1, v10, s[6:7] offset:16
.LBB2_5:                                ;   in Loop: Header=BB2_3 Depth=1
	s_wait_xcnt 0x0
	s_or_b32 exec_lo, exec_lo, s12
	s_delay_alu instid0(SALU_CYCLE_1)
	s_mov_b32 s12, exec_lo
	v_cmpx_u_f32_e32 v8, v8
	s_cbranch_execz .LBB2_7
; %bb.6:                                ;   in Loop: Header=BB2_3 Depth=1
	global_store_b32 v1, v10, s[6:7] offset:20
.LBB2_7:                                ;   in Loop: Header=BB2_3 Depth=1
	s_wait_xcnt 0x0
	s_or_b32 exec_lo, exec_lo, s12
	v_cmp_class_f32_e64 s13, v8, 0x204
	s_and_saveexec_b32 s12, s13
	s_cbranch_execz .LBB2_2
; %bb.8:                                ;   in Loop: Header=BB2_3 Depth=1
	global_store_b32 v1, v10, s[6:7] offset:24
	s_branch .LBB2_2
.LBB2_9:
	s_or_b32 exec_lo, exec_lo, s11
	v_and_b32_e32 v5, 0xffff0000, v11
	v_lshlrev_b32_e32 v4, 16, v11
.LBB2_10:
	s_or_b32 exec_lo, exec_lo, s10
	s_load_b32 s0, s[0:1], 0x18
	s_wait_kmcnt 0x0
	s_bitcmp1_b32 s0, 0
	s_cselect_b32 s0, -1, 0
	s_delay_alu instid0(SALU_CYCLE_1)
	s_and_b32 vcc_lo, exec_lo, s0
	s_cbranch_vccz .LBB2_36
; %bb.11:
	v_lshlrev_b32_e32 v1, 4, v0
	s_mov_b32 s0, exec_lo
	ds_store_b128 v1, v[2:5]
	s_wait_storecnt_dscnt 0x0
	s_barrier_signal -1
	s_barrier_wait -1
	v_cmpx_gt_u32_e32 0x80, v0
	s_cbranch_execz .LBB2_13
; %bb.12:
	ds_load_b128 v[2:5], v1 offset:2048
	ds_load_b128 v[6:9], v1
	s_wait_dscnt 0x1
	v_dual_max_num_f32 v4, v4, v4 :: v_dual_max_num_f32 v5, v5, v5
	s_wait_dscnt 0x0
	v_dual_max_num_f32 v8, v8, v8 :: v_dual_max_num_f32 v9, v9, v9
	v_pk_add_f32 v[2:3], v[2:3], v[6:7]
	s_delay_alu instid0(VALU_DEP_2)
	v_dual_min_num_f32 v4, v8, v4 :: v_dual_max_num_f32 v5, v9, v5
	ds_store_b128 v1, v[2:5]
.LBB2_13:
	s_or_b32 exec_lo, exec_lo, s0
	s_delay_alu instid0(SALU_CYCLE_1)
	s_mov_b32 s0, exec_lo
	s_wait_dscnt 0x0
	s_barrier_signal -1
	s_barrier_wait -1
	v_cmpx_gt_u32_e32 64, v0
	s_cbranch_execz .LBB2_15
; %bb.14:
	ds_load_b128 v[2:5], v1 offset:1024
	ds_load_b128 v[6:9], v1
	s_wait_dscnt 0x1
	v_dual_max_num_f32 v4, v4, v4 :: v_dual_max_num_f32 v5, v5, v5
	s_wait_dscnt 0x0
	v_dual_max_num_f32 v8, v8, v8 :: v_dual_max_num_f32 v9, v9, v9
	v_pk_add_f32 v[2:3], v[2:3], v[6:7]
	s_delay_alu instid0(VALU_DEP_2)
	v_dual_min_num_f32 v4, v8, v4 :: v_dual_max_num_f32 v5, v9, v5
	ds_store_b128 v1, v[2:5]
.LBB2_15:
	s_or_b32 exec_lo, exec_lo, s0
	s_delay_alu instid0(SALU_CYCLE_1)
	s_mov_b32 s0, exec_lo
	s_wait_dscnt 0x0
	;; [unrolled: 20-line block ×6, first 2 shown]
	s_barrier_signal -1
	s_barrier_wait -1
	v_cmpx_gt_u32_e32 2, v0
	s_cbranch_execz .LBB2_25
; %bb.24:
	ds_load_b128 v[2:5], v1 offset:32
	ds_load_b128 v[6:9], v1
	s_wait_dscnt 0x1
	v_dual_max_num_f32 v4, v4, v4 :: v_dual_max_num_f32 v5, v5, v5
	s_wait_dscnt 0x0
	v_dual_max_num_f32 v8, v8, v8 :: v_dual_max_num_f32 v9, v9, v9
	v_pk_add_f32 v[2:3], v[2:3], v[6:7]
	s_delay_alu instid0(VALU_DEP_2)
	v_dual_min_num_f32 v4, v8, v4 :: v_dual_max_num_f32 v5, v9, v5
	ds_store_b128 v1, v[2:5]
.LBB2_25:
	s_or_b32 exec_lo, exec_lo, s0
	v_cmp_eq_u32_e32 vcc_lo, 0, v0
	s_wait_dscnt 0x0
	s_barrier_signal -1
	s_barrier_wait -1
	s_and_saveexec_b32 s0, vcc_lo
	s_cbranch_execz .LBB2_27
; %bb.26:
	ds_load_b128 v[2:5], v1 offset:16
	ds_load_b128 v[6:9], v1
	s_wait_dscnt 0x1
	v_dual_max_num_f32 v0, v4, v4 :: v_dual_max_num_f32 v5, v5, v5
	s_wait_dscnt 0x0
	v_dual_max_num_f32 v4, v8, v8 :: v_dual_max_num_f32 v8, v9, v9
	v_pk_add_f32 v[2:3], v[2:3], v[6:7]
	s_delay_alu instid0(VALU_DEP_2) | instskip(NEXT) | instid1(VALU_DEP_3)
	v_min_num_f32_e32 v4, v4, v0
	v_max_num_f32_e32 v5, v8, v5
	ds_store_b128 v1, v[2:5]
.LBB2_27:
	s_or_b32 exec_lo, exec_lo, s0
	s_wait_dscnt 0x0
	s_barrier_signal -1
	s_barrier_wait -1
	s_and_saveexec_b32 s0, vcc_lo
	s_cbranch_execz .LBB2_36
; %bb.28:
	s_mov_b32 s1, exec_lo
	s_mov_b32 s0, exec_lo
	v_mbcnt_lo_u32_b32 v0, s1, 0
	s_delay_alu instid0(VALU_DEP_1)
	v_cmpx_eq_u32_e32 0, v0
	s_cbranch_execz .LBB2_30
; %bb.29:
	s_bcnt1_i32_b32 s1, s1
	s_delay_alu instid0(SALU_CYCLE_1)
	v_cvt_f32_ubyte0_e32 v2, s1
	v_mov_b32_e32 v0, 0
	ds_load_b32 v1, v0
	s_wait_dscnt 0x0
	v_mul_f32_e32 v1, v1, v2
	global_atomic_add_f32 v0, v1, s[6:7] scope:SCOPE_DEV
.LBB2_30:
	s_wait_xcnt 0x0
	s_or_b32 exec_lo, exec_lo, s0
	s_delay_alu instid0(SALU_CYCLE_1) | instskip(SKIP_2) | instid1(VALU_DEP_1)
	s_mov_b32 s1, exec_lo
	s_mov_b32 s0, exec_lo
	v_mbcnt_lo_u32_b32 v0, s1, 0
	v_cmpx_eq_u32_e32 0, v0
	s_cbranch_execz .LBB2_32
; %bb.31:
	s_bcnt1_i32_b32 s1, s1
	s_delay_alu instid0(SALU_CYCLE_1)
	v_cvt_f32_ubyte0_e32 v2, s1
	v_mov_b32_e32 v0, 0
	ds_load_b32 v1, v0 offset:4
	s_wait_dscnt 0x0
	v_mul_f32_e32 v1, v1, v2
	global_atomic_add_f32 v0, v1, s[6:7] offset:4 scope:SCOPE_DEV
.LBB2_32:
	s_wait_xcnt 0x0
	s_or_b32 exec_lo, exec_lo, s0
	s_delay_alu instid0(SALU_CYCLE_1) | instskip(SKIP_1) | instid1(VALU_DEP_1)
	v_mbcnt_lo_u32_b32 v0, exec_lo, 0
	s_mov_b32 s0, exec_lo
	v_cmpx_eq_u32_e32 0, v0
	s_cbranch_execz .LBB2_34
; %bb.33:
	v_mov_b32_e32 v0, 0
	ds_load_b32 v1, v0 offset:8
	s_wait_dscnt 0x0
	global_atomic_min_num_f32 v0, v1, s[6:7] offset:8 scope:SCOPE_DEV
.LBB2_34:
	s_wait_xcnt 0x0
	s_or_b32 exec_lo, exec_lo, s0
	s_delay_alu instid0(SALU_CYCLE_1) | instskip(NEXT) | instid1(VALU_DEP_1)
	v_mbcnt_lo_u32_b32 v0, exec_lo, 0
	v_cmp_eq_u32_e32 vcc_lo, 0, v0
	s_and_b32 exec_lo, exec_lo, vcc_lo
	s_cbranch_execz .LBB2_36
; %bb.35:
	v_mov_b32_e32 v0, 0
	ds_load_b32 v1, v0 offset:12
	s_wait_dscnt 0x0
	global_atomic_max_num_f32 v0, v1, s[6:7] offset:12 scope:SCOPE_DEV
.LBB2_36:
	s_endpgm
	.section	.rodata,"a",@progbits
	.p2align	6, 0x0
	.amdhsa_kernel check_numerics_bf16
		.amdhsa_group_segment_fixed_size 4096
		.amdhsa_private_segment_fixed_size 0
		.amdhsa_kernarg_size 288
		.amdhsa_user_sgpr_count 2
		.amdhsa_user_sgpr_dispatch_ptr 0
		.amdhsa_user_sgpr_queue_ptr 0
		.amdhsa_user_sgpr_kernarg_segment_ptr 1
		.amdhsa_user_sgpr_dispatch_id 0
		.amdhsa_user_sgpr_kernarg_preload_length 0
		.amdhsa_user_sgpr_kernarg_preload_offset 0
		.amdhsa_user_sgpr_private_segment_size 0
		.amdhsa_wavefront_size32 1
		.amdhsa_uses_dynamic_stack 0
		.amdhsa_enable_private_segment 0
		.amdhsa_system_sgpr_workgroup_id_x 1
		.amdhsa_system_sgpr_workgroup_id_y 0
		.amdhsa_system_sgpr_workgroup_id_z 0
		.amdhsa_system_sgpr_workgroup_info 0
		.amdhsa_system_vgpr_workitem_id 0
		.amdhsa_next_free_vgpr 17
		.amdhsa_next_free_sgpr 14
		.amdhsa_named_barrier_count 0
		.amdhsa_reserve_vcc 1
		.amdhsa_float_round_mode_32 0
		.amdhsa_float_round_mode_16_64 0
		.amdhsa_float_denorm_mode_32 3
		.amdhsa_float_denorm_mode_16_64 3
		.amdhsa_fp16_overflow 0
		.amdhsa_memory_ordered 1
		.amdhsa_forward_progress 1
		.amdhsa_inst_pref_size 13
		.amdhsa_round_robin_scheduling 0
		.amdhsa_exception_fp_ieee_invalid_op 0
		.amdhsa_exception_fp_denorm_src 0
		.amdhsa_exception_fp_ieee_div_zero 0
		.amdhsa_exception_fp_ieee_overflow 0
		.amdhsa_exception_fp_ieee_underflow 0
		.amdhsa_exception_fp_ieee_inexact 0
		.amdhsa_exception_int_div_zero 0
	.end_amdhsa_kernel
	.text
.Lfunc_end2:
	.size	check_numerics_bf16, .Lfunc_end2-check_numerics_bf16
                                        ; -- End function
	.set check_numerics_bf16.num_vgpr, 17
	.set check_numerics_bf16.num_agpr, 0
	.set check_numerics_bf16.numbered_sgpr, 14
	.set check_numerics_bf16.num_named_barrier, 0
	.set check_numerics_bf16.private_seg_size, 0
	.set check_numerics_bf16.uses_vcc, 1
	.set check_numerics_bf16.uses_flat_scratch, 0
	.set check_numerics_bf16.has_dyn_sized_stack, 0
	.set check_numerics_bf16.has_recursion, 0
	.set check_numerics_bf16.has_indirect_call, 0
	.section	.AMDGPU.csdata,"",@progbits
; Kernel info:
; codeLenInByte = 1636
; TotalNumSgprs: 16
; NumVgprs: 17
; ScratchSize: 0
; MemoryBound: 0
; FloatMode: 240
; IeeeMode: 1
; LDSByteSize: 4096 bytes/workgroup (compile time only)
; SGPRBlocks: 0
; VGPRBlocks: 1
; NumSGPRsForWavesPerEU: 16
; NumVGPRsForWavesPerEU: 17
; NamedBarCnt: 0
; Occupancy: 16
; WaveLimiterHint : 0
; COMPUTE_PGM_RSRC2:SCRATCH_EN: 0
; COMPUTE_PGM_RSRC2:USER_SGPR: 2
; COMPUTE_PGM_RSRC2:TRAP_HANDLER: 0
; COMPUTE_PGM_RSRC2:TGID_X_EN: 1
; COMPUTE_PGM_RSRC2:TGID_Y_EN: 0
; COMPUTE_PGM_RSRC2:TGID_Z_EN: 0
; COMPUTE_PGM_RSRC2:TIDIG_COMP_CNT: 0
	.text
	.protected	check_numerics_fp8      ; -- Begin function check_numerics_fp8
	.globl	check_numerics_fp8
	.p2align	8
	.type	check_numerics_fp8,@function
check_numerics_fp8:                     ; @check_numerics_fp8
; %bb.0:
	s_load_b32 s2, s[0:1], 0x20
	s_bfe_u32 s3, ttmp6, 0x4000c
	s_and_b32 s4, ttmp6, 15
	s_add_co_i32 s3, s3, 1
	s_getreg_b32 s5, hwreg(HW_REG_IB_STS2, 6, 4)
	s_mul_i32 s3, ttmp9, s3
	s_mov_b32 s9, 0
	s_add_co_i32 s4, s4, s3
	s_cmp_eq_u32 s5, 0
	v_dual_mov_b32 v3, 0 :: v_dual_mov_b32 v1, 8
	s_cselect_b32 s3, ttmp9, s4
	s_add_nc_u64 s[4:5], s[0:1], 32
	v_mov_b32_e32 v8, 0x7f
	s_delay_alu instid0(VALU_DEP_2) | instskip(SKIP_3) | instid1(SALU_CYCLE_1)
	v_mov_b32_e32 v4, v3
	s_wait_kmcnt 0x0
	s_cmp_lt_u32 s3, s2
	s_cselect_b32 s8, 12, 18
	s_add_nc_u64 s[10:11], s[4:5], s[8:9]
	s_load_u16 s8, s[10:11], 0x0
	s_load_b128 s[4:7], s[0:1], 0x8
	s_wait_kmcnt 0x0
	v_mad_u32 v2, s3, s8, v0
	s_mov_b32 s3, exec_lo
	s_delay_alu instid0(VALU_DEP_1)
	v_cmpx_gt_u64_e64 s[4:5], v[2:3]
	s_cbranch_execz .LBB3_66
; %bb.1:
	s_load_b64 s[10:11], s[0:1], 0x0
	v_mov_b64_e32 v[6:7], v[2:3]
	v_dual_mov_b32 v1, 8 :: v_dual_mov_b32 v8, 0x7f
	v_dual_mov_b32 v2, 0 :: v_dual_mov_b32 v5, 1
	;; [unrolled: 1-line block ×3, first 2 shown]
	s_mul_i32 s8, s2, s8
	s_mov_b32 s12, s9
	s_branch .LBB3_3
.LBB3_2:                                ;   in Loop: Header=BB3_3 Depth=1
	s_wait_xcnt 0x0
	s_or_b32 exec_lo, exec_lo, s2
	v_add_nc_u64_e32 v[6:7], s[8:9], v[6:7]
	v_cmp_gt_f32_e64 s2, v14, v15
	v_dual_add_f32 v3, v3, v11 :: v_dual_add_f32 v4, v4, v10
	s_delay_alu instid0(VALU_DEP_2) | instskip(SKIP_2) | instid1(VALU_DEP_2)
	v_cndmask_b32_e64 v1, v9, v1, s2
	v_cmp_lt_f32_e64 s2, v12, v13
	v_cmp_le_u64_e32 vcc_lo, s[4:5], v[6:7]
	v_cndmask_b32_e64 v8, v9, v8, s2
	s_or_b32 s12, vcc_lo, s12
	s_delay_alu instid0(SALU_CYCLE_1)
	s_and_not1_b32 exec_lo, exec_lo, s12
	s_cbranch_execz .LBB3_65
.LBB3_3:                                ; =>This Inner Loop Header: Depth=1
	s_wait_kmcnt 0x0
	v_add_nc_u64_e32 v[10:11], s[10:11], v[6:7]
	s_mov_b32 s2, 0
	s_mov_b32 s13, exec_lo
	global_load_u8 v9, v[10:11], off
	s_wait_loadcnt 0x0
	s_wait_xcnt 0x0
	v_cmpx_lt_i16_e32 0x7f, v9
	s_xor_b32 s13, exec_lo, s13
	s_cbranch_execnz .LBB3_34
; %bb.4:                                ;   in Loop: Header=BB3_3 Depth=1
	s_or_saveexec_b32 s13, s13
	v_mov_b32_e32 v10, 0x7f800001
	s_xor_b32 exec_lo, exec_lo, s13
	s_cbranch_execnz .LBB3_37
.LBB3_5:                                ;   in Loop: Header=BB3_3 Depth=1
	s_or_b32 exec_lo, exec_lo, s13
	s_and_saveexec_b32 s13, s2
	s_cbranch_execz .LBB3_7
.LBB3_6:                                ;   in Loop: Header=BB3_3 Depth=1
	v_and_b32_e32 v10, 0xffff, v9
	s_delay_alu instid0(VALU_DEP_1) | instskip(NEXT) | instid1(VALU_DEP_1)
	v_and_b32_e32 v11, 7, v10
	v_clz_i32_u32_e32 v12, v11
	s_delay_alu instid0(VALU_DEP_1) | instskip(NEXT) | instid1(VALU_DEP_1)
	v_subrev_nc_u32_e32 v13, 28, v12
	v_lshlrev_b32_e32 v13, v13, v10
	v_bfe_u32 v10, v10, 3, 4
	s_delay_alu instid0(VALU_DEP_2) | instskip(NEXT) | instid1(VALU_DEP_2)
	v_dual_sub_nc_u32 v12, 29, v12 :: v_dual_bitop2_b32 v13, 7, v13 bitop3:0x40
	v_cmp_eq_u32_e32 vcc_lo, 0, v10
	s_delay_alu instid0(VALU_DEP_2) | instskip(NEXT) | instid1(VALU_DEP_3)
	v_dual_lshlrev_b32 v14, 24, v9 :: v_dual_cndmask_b32 v10, v10, v12, vcc_lo
	v_cndmask_b32_e32 v11, v11, v13, vcc_lo
	s_delay_alu instid0(VALU_DEP_2) | instskip(NEXT) | instid1(VALU_DEP_3)
	v_and_b32_e32 v12, 0x80000000, v14
	v_lshl_add_u32 v10, v10, 23, 0x3b800000
	s_delay_alu instid0(VALU_DEP_3) | instskip(NEXT) | instid1(VALU_DEP_1)
	v_lshlrev_b32_e32 v11, 20, v11
	v_or3_b32 v10, v12, v10, v11
.LBB3_7:                                ;   in Loop: Header=BB3_3 Depth=1
	s_or_b32 exec_lo, exec_lo, s13
	s_mov_b32 s2, 0
	s_mov_b32 s13, exec_lo
	v_cmpx_lt_i16_e32 0x7f, v9
	s_xor_b32 s13, exec_lo, s13
	s_cbranch_execnz .LBB3_38
; %bb.8:                                ;   in Loop: Header=BB3_3 Depth=1
	s_or_saveexec_b32 s13, s13
	v_mov_b32_e32 v11, 0x7f800001
	s_xor_b32 exec_lo, exec_lo, s13
	s_cbranch_execnz .LBB3_41
.LBB3_9:                                ;   in Loop: Header=BB3_3 Depth=1
	s_or_b32 exec_lo, exec_lo, s13
	s_and_saveexec_b32 s13, s2
	s_cbranch_execz .LBB3_11
.LBB3_10:                               ;   in Loop: Header=BB3_3 Depth=1
	v_and_b32_e32 v11, 0xffff, v9
	s_delay_alu instid0(VALU_DEP_1) | instskip(NEXT) | instid1(VALU_DEP_1)
	v_and_b32_e32 v12, 7, v11
	v_clz_i32_u32_e32 v13, v12
	s_delay_alu instid0(VALU_DEP_1) | instskip(NEXT) | instid1(VALU_DEP_1)
	v_subrev_nc_u32_e32 v14, 28, v13
	v_lshlrev_b32_e32 v14, v14, v11
	v_bfe_u32 v11, v11, 3, 4
	s_delay_alu instid0(VALU_DEP_2) | instskip(NEXT) | instid1(VALU_DEP_2)
	v_dual_sub_nc_u32 v13, 29, v13 :: v_dual_bitop2_b32 v14, 7, v14 bitop3:0x40
	v_cmp_eq_u32_e32 vcc_lo, 0, v11
	s_delay_alu instid0(VALU_DEP_2) | instskip(NEXT) | instid1(VALU_DEP_3)
	v_dual_cndmask_b32 v12, v12, v14 :: v_dual_lshlrev_b32 v15, 24, v9
	v_cndmask_b32_e32 v11, v11, v13, vcc_lo
	s_delay_alu instid0(VALU_DEP_2) | instskip(NEXT) | instid1(VALU_DEP_3)
	v_and_b32_e32 v13, 0x80000000, v15
	v_lshlrev_b32_e32 v12, 20, v12
	s_delay_alu instid0(VALU_DEP_3) | instskip(NEXT) | instid1(VALU_DEP_1)
	v_lshl_add_u32 v11, v11, 23, 0x3b800000
	v_or3_b32 v11, v13, v11, v12
	s_delay_alu instid0(VALU_DEP_1)
	v_and_b32_e32 v11, 0x7fffffff, v11
.LBB3_11:                               ;   in Loop: Header=BB3_3 Depth=1
	s_or_b32 exec_lo, exec_lo, s13
	v_and_b32_e32 v13, 0xff, v8
	s_mov_b32 s2, 0
	s_mov_b32 s13, exec_lo
	s_delay_alu instid0(VALU_DEP_1)
	v_cmpx_lt_i16_e32 0x7f, v13
	s_xor_b32 s13, exec_lo, s13
	s_cbranch_execnz .LBB3_42
; %bb.12:                               ;   in Loop: Header=BB3_3 Depth=1
	s_or_saveexec_b32 s13, s13
	v_mov_b32_e32 v12, 0x7f800001
	s_xor_b32 exec_lo, exec_lo, s13
	s_cbranch_execnz .LBB3_45
.LBB3_13:                               ;   in Loop: Header=BB3_3 Depth=1
	s_or_b32 exec_lo, exec_lo, s13
	s_and_saveexec_b32 s13, s2
	s_cbranch_execz .LBB3_15
.LBB3_14:                               ;   in Loop: Header=BB3_3 Depth=1
	v_and_b32_e32 v12, 7, v8
	v_lshrrev_b16 v15, 3, v8
	v_lshlrev_b32_e32 v16, 24, v8
	s_delay_alu instid0(VALU_DEP_3) | instskip(NEXT) | instid1(VALU_DEP_3)
	v_clz_i32_u32_e32 v13, v12
	v_and_b32_e32 v15, 15, v15
	s_delay_alu instid0(VALU_DEP_2) | instskip(SKIP_1) | instid1(VALU_DEP_3)
	v_subrev_nc_u32_e32 v14, 28, v13
	v_sub_nc_u32_e32 v13, 29, v13
	v_cmp_eq_u32_e32 vcc_lo, 0, v15
	s_delay_alu instid0(VALU_DEP_2) | instskip(NEXT) | instid1(VALU_DEP_1)
	v_dual_cndmask_b32 v13, v15, v13 :: v_dual_lshlrev_b32 v14, v14, v8
	v_and_b32_e32 v14, 7, v14
	s_delay_alu instid0(VALU_DEP_2) | instskip(NEXT) | instid1(VALU_DEP_2)
	v_lshl_add_u32 v13, v13, 23, 0x3b800000
	v_cndmask_b32_e32 v12, v12, v14, vcc_lo
	v_and_b32_e32 v14, 0x80000000, v16
	s_delay_alu instid0(VALU_DEP_2) | instskip(NEXT) | instid1(VALU_DEP_1)
	v_lshlrev_b32_e32 v12, 20, v12
	v_or3_b32 v12, v14, v13, v12
.LBB3_15:                               ;   in Loop: Header=BB3_3 Depth=1
	s_or_b32 exec_lo, exec_lo, s13
	s_mov_b32 s2, 0
	s_mov_b32 s13, exec_lo
	v_cmpx_lt_i16_e32 0x7f, v9
	s_xor_b32 s13, exec_lo, s13
	s_cbranch_execnz .LBB3_46
; %bb.16:                               ;   in Loop: Header=BB3_3 Depth=1
	s_or_saveexec_b32 s13, s13
	v_mov_b32_e32 v13, 0x7f800001
	s_xor_b32 exec_lo, exec_lo, s13
	s_cbranch_execnz .LBB3_49
.LBB3_17:                               ;   in Loop: Header=BB3_3 Depth=1
	s_or_b32 exec_lo, exec_lo, s13
	s_and_saveexec_b32 s13, s2
	s_cbranch_execz .LBB3_19
.LBB3_18:                               ;   in Loop: Header=BB3_3 Depth=1
	v_and_b32_e32 v13, 0xffff, v9
	s_delay_alu instid0(VALU_DEP_1) | instskip(NEXT) | instid1(VALU_DEP_1)
	v_and_b32_e32 v14, 7, v13
	v_clz_i32_u32_e32 v15, v14
	s_delay_alu instid0(VALU_DEP_1) | instskip(NEXT) | instid1(VALU_DEP_1)
	v_subrev_nc_u32_e32 v16, 28, v15
	v_lshlrev_b32_e32 v16, v16, v13
	v_bfe_u32 v13, v13, 3, 4
	s_delay_alu instid0(VALU_DEP_2) | instskip(NEXT) | instid1(VALU_DEP_2)
	v_dual_sub_nc_u32 v15, 29, v15 :: v_dual_bitop2_b32 v16, 7, v16 bitop3:0x40
	v_cmp_eq_u32_e32 vcc_lo, 0, v13
	s_delay_alu instid0(VALU_DEP_2) | instskip(NEXT) | instid1(VALU_DEP_3)
	v_dual_cndmask_b32 v14, v14, v16 :: v_dual_lshlrev_b32 v17, 24, v9
	v_cndmask_b32_e32 v13, v13, v15, vcc_lo
	s_delay_alu instid0(VALU_DEP_2) | instskip(NEXT) | instid1(VALU_DEP_3)
	v_and_b32_e32 v15, 0x80000000, v17
	v_lshlrev_b32_e32 v14, 20, v14
	s_delay_alu instid0(VALU_DEP_3) | instskip(NEXT) | instid1(VALU_DEP_1)
	v_lshl_add_u32 v13, v13, 23, 0x3b800000
	v_or3_b32 v13, v15, v13, v14
.LBB3_19:                               ;   in Loop: Header=BB3_3 Depth=1
	s_or_b32 exec_lo, exec_lo, s13
	v_and_b32_e32 v15, 0xff, v1
	s_mov_b32 s2, 0
	s_mov_b32 s13, exec_lo
	s_delay_alu instid0(VALU_DEP_1)
	v_cmpx_lt_i16_e32 0x7f, v15
	s_xor_b32 s13, exec_lo, s13
	s_cbranch_execnz .LBB3_50
; %bb.20:                               ;   in Loop: Header=BB3_3 Depth=1
	s_or_saveexec_b32 s13, s13
	v_mov_b32_e32 v14, 0x7f800001
	s_xor_b32 exec_lo, exec_lo, s13
	s_cbranch_execnz .LBB3_53
.LBB3_21:                               ;   in Loop: Header=BB3_3 Depth=1
	s_or_b32 exec_lo, exec_lo, s13
	s_and_saveexec_b32 s13, s2
	s_cbranch_execz .LBB3_23
.LBB3_22:                               ;   in Loop: Header=BB3_3 Depth=1
	v_and_b32_e32 v14, 7, v1
	v_lshrrev_b16 v17, 3, v1
	v_lshlrev_b32_e32 v18, 24, v1
	s_delay_alu instid0(VALU_DEP_3) | instskip(NEXT) | instid1(VALU_DEP_3)
	v_clz_i32_u32_e32 v15, v14
	v_and_b32_e32 v17, 15, v17
	s_delay_alu instid0(VALU_DEP_2) | instskip(SKIP_1) | instid1(VALU_DEP_3)
	v_subrev_nc_u32_e32 v16, 28, v15
	v_sub_nc_u32_e32 v15, 29, v15
	v_cmp_eq_u32_e32 vcc_lo, 0, v17
	s_delay_alu instid0(VALU_DEP_2) | instskip(NEXT) | instid1(VALU_DEP_1)
	v_dual_cndmask_b32 v15, v17, v15 :: v_dual_lshlrev_b32 v16, v16, v1
	v_and_b32_e32 v16, 7, v16
	s_delay_alu instid0(VALU_DEP_2) | instskip(NEXT) | instid1(VALU_DEP_2)
	v_lshl_add_u32 v15, v15, 23, 0x3b800000
	v_cndmask_b32_e32 v14, v14, v16, vcc_lo
	v_and_b32_e32 v16, 0x80000000, v18
	s_delay_alu instid0(VALU_DEP_2) | instskip(NEXT) | instid1(VALU_DEP_1)
	v_lshlrev_b32_e32 v14, 20, v14
	v_or3_b32 v14, v16, v15, v14
.LBB3_23:                               ;   in Loop: Header=BB3_3 Depth=1
	s_or_b32 exec_lo, exec_lo, s13
	s_mov_b32 s2, 0
	s_mov_b32 s13, exec_lo
	v_cmpx_lt_i16_e32 0x7f, v9
	s_xor_b32 s13, exec_lo, s13
	s_cbranch_execnz .LBB3_54
; %bb.24:                               ;   in Loop: Header=BB3_3 Depth=1
	s_or_saveexec_b32 s13, s13
	v_mov_b32_e32 v15, 0x7f800001
	s_xor_b32 exec_lo, exec_lo, s13
	s_cbranch_execnz .LBB3_57
.LBB3_25:                               ;   in Loop: Header=BB3_3 Depth=1
	s_or_b32 exec_lo, exec_lo, s13
	s_and_saveexec_b32 s13, s2
	s_cbranch_execz .LBB3_27
.LBB3_26:                               ;   in Loop: Header=BB3_3 Depth=1
	v_and_b32_e32 v15, 0xffff, v9
	s_delay_alu instid0(VALU_DEP_1) | instskip(NEXT) | instid1(VALU_DEP_1)
	v_and_b32_e32 v16, 7, v15
	v_clz_i32_u32_e32 v17, v16
	s_delay_alu instid0(VALU_DEP_1) | instskip(NEXT) | instid1(VALU_DEP_1)
	v_subrev_nc_u32_e32 v18, 28, v17
	v_lshlrev_b32_e32 v18, v18, v15
	v_bfe_u32 v15, v15, 3, 4
	s_delay_alu instid0(VALU_DEP_2) | instskip(NEXT) | instid1(VALU_DEP_2)
	v_dual_sub_nc_u32 v17, 29, v17 :: v_dual_bitop2_b32 v18, 7, v18 bitop3:0x40
	v_cmp_eq_u32_e32 vcc_lo, 0, v15
	s_delay_alu instid0(VALU_DEP_2) | instskip(NEXT) | instid1(VALU_DEP_3)
	v_dual_cndmask_b32 v16, v16, v18 :: v_dual_lshlrev_b32 v19, 24, v9
	v_cndmask_b32_e32 v15, v15, v17, vcc_lo
	s_delay_alu instid0(VALU_DEP_2) | instskip(NEXT) | instid1(VALU_DEP_3)
	v_and_b32_e32 v17, 0x80000000, v19
	v_lshlrev_b32_e32 v16, 20, v16
	s_delay_alu instid0(VALU_DEP_3) | instskip(NEXT) | instid1(VALU_DEP_1)
	v_lshl_add_u32 v15, v15, 23, 0x3b800000
	v_or3_b32 v15, v17, v15, v16
.LBB3_27:                               ;   in Loop: Header=BB3_3 Depth=1
	s_or_b32 exec_lo, exec_lo, s13
	s_delay_alu instid0(SALU_CYCLE_1)
	s_mov_b32 s2, exec_lo
	v_cmpx_ge_f32_e32 0, v11
	s_cbranch_execz .LBB3_29
; %bb.28:                               ;   in Loop: Header=BB3_3 Depth=1
	global_store_b32 v2, v5, s[6:7] offset:16
.LBB3_29:                               ;   in Loop: Header=BB3_3 Depth=1
	s_wait_xcnt 0x0
	s_or_b32 exec_lo, exec_lo, s2
	s_mov_b32 s2, 0
	s_mov_b32 s13, 0
	s_mov_b32 s14, exec_lo
	v_cmpx_lt_i16_e32 0x7f, v9
	s_xor_b32 s14, exec_lo, s14
	s_cbranch_execnz .LBB3_58
; %bb.30:                               ;   in Loop: Header=BB3_3 Depth=1
	s_and_not1_saveexec_b32 s14, s14
	s_cbranch_execnz .LBB3_59
.LBB3_31:                               ;   in Loop: Header=BB3_3 Depth=1
	s_or_b32 exec_lo, exec_lo, s14
	s_mov_b32 s15, 0
	s_and_saveexec_b32 s14, s2
	s_cbranch_execnz .LBB3_60
.LBB3_32:                               ;   in Loop: Header=BB3_3 Depth=1
	s_or_b32 exec_lo, exec_lo, s14
	s_and_saveexec_b32 s2, s13
	s_cbranch_execnz .LBB3_61
.LBB3_33:                               ;   in Loop: Header=BB3_3 Depth=1
	s_or_b32 exec_lo, exec_lo, s2
	s_and_saveexec_b32 s2, s15
	s_cbranch_execz .LBB3_2
	s_branch .LBB3_62
.LBB3_34:                               ;   in Loop: Header=BB3_3 Depth=1
	s_mov_b32 s2, -1
	s_mov_b32 s14, exec_lo
	v_cmpx_eq_u16_e32 0x80, v9
; %bb.35:                               ;   in Loop: Header=BB3_3 Depth=1
	s_xor_b32 s2, exec_lo, -1
; %bb.36:                               ;   in Loop: Header=BB3_3 Depth=1
	s_or_b32 exec_lo, exec_lo, s14
	s_delay_alu instid0(SALU_CYCLE_1)
	s_and_b32 s2, s2, exec_lo
	s_or_saveexec_b32 s13, s13
	v_mov_b32_e32 v10, 0x7f800001
	s_xor_b32 exec_lo, exec_lo, s13
	s_cbranch_execz .LBB3_5
.LBB3_37:                               ;   in Loop: Header=BB3_3 Depth=1
	v_cmp_ne_u16_e32 vcc_lo, 0, v9
	v_mov_b32_e32 v10, 0
	s_and_not1_b32 s2, s2, exec_lo
	s_and_b32 s14, vcc_lo, exec_lo
	s_delay_alu instid0(SALU_CYCLE_1)
	s_or_b32 s2, s2, s14
	s_or_b32 exec_lo, exec_lo, s13
	s_and_saveexec_b32 s13, s2
	s_cbranch_execnz .LBB3_6
	s_branch .LBB3_7
.LBB3_38:                               ;   in Loop: Header=BB3_3 Depth=1
	s_mov_b32 s2, -1
	s_mov_b32 s14, exec_lo
	v_cmpx_eq_u16_e32 0x80, v9
; %bb.39:                               ;   in Loop: Header=BB3_3 Depth=1
	s_xor_b32 s2, exec_lo, -1
; %bb.40:                               ;   in Loop: Header=BB3_3 Depth=1
	s_or_b32 exec_lo, exec_lo, s14
	s_delay_alu instid0(SALU_CYCLE_1)
	s_and_b32 s2, s2, exec_lo
	s_or_saveexec_b32 s13, s13
	v_mov_b32_e32 v11, 0x7f800001
	s_xor_b32 exec_lo, exec_lo, s13
	s_cbranch_execz .LBB3_9
.LBB3_41:                               ;   in Loop: Header=BB3_3 Depth=1
	v_cmp_ne_u16_e32 vcc_lo, 0, v9
	v_mov_b32_e32 v11, 0
	s_and_not1_b32 s2, s2, exec_lo
	s_and_b32 s14, vcc_lo, exec_lo
	s_delay_alu instid0(SALU_CYCLE_1)
	s_or_b32 s2, s2, s14
	s_or_b32 exec_lo, exec_lo, s13
	s_and_saveexec_b32 s13, s2
	s_cbranch_execnz .LBB3_10
	s_branch .LBB3_11
.LBB3_42:                               ;   in Loop: Header=BB3_3 Depth=1
	s_mov_b32 s2, -1
	s_mov_b32 s14, exec_lo
	v_cmpx_eq_u16_e32 0x80, v13
; %bb.43:                               ;   in Loop: Header=BB3_3 Depth=1
	s_xor_b32 s2, exec_lo, -1
; %bb.44:                               ;   in Loop: Header=BB3_3 Depth=1
	s_or_b32 exec_lo, exec_lo, s14
	s_delay_alu instid0(SALU_CYCLE_1)
	s_and_b32 s2, s2, exec_lo
                                        ; implicit-def: $vgpr13
	s_or_saveexec_b32 s13, s13
	v_mov_b32_e32 v12, 0x7f800001
	s_xor_b32 exec_lo, exec_lo, s13
	s_cbranch_execz .LBB3_13
.LBB3_45:                               ;   in Loop: Header=BB3_3 Depth=1
	v_cmp_ne_u16_e32 vcc_lo, 0, v13
	v_mov_b32_e32 v12, 0
	s_and_not1_b32 s2, s2, exec_lo
	s_and_b32 s14, vcc_lo, exec_lo
	s_delay_alu instid0(SALU_CYCLE_1)
	s_or_b32 s2, s2, s14
	s_or_b32 exec_lo, exec_lo, s13
	s_and_saveexec_b32 s13, s2
	s_cbranch_execnz .LBB3_14
	s_branch .LBB3_15
.LBB3_46:                               ;   in Loop: Header=BB3_3 Depth=1
	s_mov_b32 s2, -1
	s_mov_b32 s14, exec_lo
	v_cmpx_eq_u16_e32 0x80, v9
; %bb.47:                               ;   in Loop: Header=BB3_3 Depth=1
	s_xor_b32 s2, exec_lo, -1
; %bb.48:                               ;   in Loop: Header=BB3_3 Depth=1
	s_or_b32 exec_lo, exec_lo, s14
	s_delay_alu instid0(SALU_CYCLE_1)
	s_and_b32 s2, s2, exec_lo
	s_or_saveexec_b32 s13, s13
	v_mov_b32_e32 v13, 0x7f800001
	s_xor_b32 exec_lo, exec_lo, s13
	s_cbranch_execz .LBB3_17
.LBB3_49:                               ;   in Loop: Header=BB3_3 Depth=1
	v_cmp_ne_u16_e32 vcc_lo, 0, v9
	v_mov_b32_e32 v13, 0
	s_and_not1_b32 s2, s2, exec_lo
	s_and_b32 s14, vcc_lo, exec_lo
	s_delay_alu instid0(SALU_CYCLE_1)
	s_or_b32 s2, s2, s14
	s_or_b32 exec_lo, exec_lo, s13
	s_and_saveexec_b32 s13, s2
	s_cbranch_execnz .LBB3_18
	s_branch .LBB3_19
.LBB3_50:                               ;   in Loop: Header=BB3_3 Depth=1
	s_mov_b32 s2, -1
	s_mov_b32 s14, exec_lo
	v_cmpx_eq_u16_e32 0x80, v15
; %bb.51:                               ;   in Loop: Header=BB3_3 Depth=1
	s_xor_b32 s2, exec_lo, -1
; %bb.52:                               ;   in Loop: Header=BB3_3 Depth=1
	s_or_b32 exec_lo, exec_lo, s14
	s_delay_alu instid0(SALU_CYCLE_1)
	s_and_b32 s2, s2, exec_lo
                                        ; implicit-def: $vgpr15
	s_or_saveexec_b32 s13, s13
	v_mov_b32_e32 v14, 0x7f800001
	s_xor_b32 exec_lo, exec_lo, s13
	s_cbranch_execz .LBB3_21
.LBB3_53:                               ;   in Loop: Header=BB3_3 Depth=1
	v_cmp_ne_u16_e32 vcc_lo, 0, v15
	v_mov_b32_e32 v14, 0
	s_and_not1_b32 s2, s2, exec_lo
	s_and_b32 s14, vcc_lo, exec_lo
	s_delay_alu instid0(SALU_CYCLE_1)
	s_or_b32 s2, s2, s14
	s_or_b32 exec_lo, exec_lo, s13
	s_and_saveexec_b32 s13, s2
	s_cbranch_execnz .LBB3_22
	s_branch .LBB3_23
.LBB3_54:                               ;   in Loop: Header=BB3_3 Depth=1
	s_mov_b32 s2, -1
	s_mov_b32 s14, exec_lo
	v_cmpx_eq_u16_e32 0x80, v9
; %bb.55:                               ;   in Loop: Header=BB3_3 Depth=1
	s_xor_b32 s2, exec_lo, -1
; %bb.56:                               ;   in Loop: Header=BB3_3 Depth=1
	s_or_b32 exec_lo, exec_lo, s14
	s_delay_alu instid0(SALU_CYCLE_1)
	s_and_b32 s2, s2, exec_lo
	s_or_saveexec_b32 s13, s13
	v_mov_b32_e32 v15, 0x7f800001
	s_xor_b32 exec_lo, exec_lo, s13
	s_cbranch_execz .LBB3_25
.LBB3_57:                               ;   in Loop: Header=BB3_3 Depth=1
	v_cmp_ne_u16_e32 vcc_lo, 0, v9
	v_mov_b32_e32 v15, 0
	s_and_not1_b32 s2, s2, exec_lo
	s_and_b32 s14, vcc_lo, exec_lo
	s_delay_alu instid0(SALU_CYCLE_1)
	s_or_b32 s2, s2, s14
	s_or_b32 exec_lo, exec_lo, s13
	s_and_saveexec_b32 s13, s2
	s_cbranch_execnz .LBB3_26
	s_branch .LBB3_27
.LBB3_58:                               ;   in Loop: Header=BB3_3 Depth=1
	v_cmp_ne_u16_e32 vcc_lo, 0x80, v9
	s_mov_b32 s13, exec_lo
	s_and_b32 s2, vcc_lo, exec_lo
	s_and_not1_saveexec_b32 s14, s14
	s_cbranch_execz .LBB3_31
.LBB3_59:                               ;   in Loop: Header=BB3_3 Depth=1
	v_cmp_ne_u16_e32 vcc_lo, 0, v9
	s_and_not1_b32 s2, s2, exec_lo
	s_and_b32 s15, vcc_lo, exec_lo
	s_delay_alu instid0(SALU_CYCLE_1)
	s_or_b32 s2, s2, s15
	s_or_b32 exec_lo, exec_lo, s14
	s_mov_b32 s15, 0
	s_and_saveexec_b32 s14, s2
	s_cbranch_execz .LBB3_32
.LBB3_60:                               ;   in Loop: Header=BB3_3 Depth=1
	v_and_b32_e32 v16, 0xffff, v9
	s_and_not1_b32 s13, s13, exec_lo
	s_delay_alu instid0(VALU_DEP_1) | instskip(NEXT) | instid1(VALU_DEP_1)
	v_and_b32_e32 v17, 7, v16
	v_clz_i32_u32_e32 v18, v17
	s_delay_alu instid0(VALU_DEP_1) | instskip(NEXT) | instid1(VALU_DEP_1)
	v_subrev_nc_u32_e32 v19, 28, v18
	v_lshlrev_b32_e32 v19, v19, v16
	v_bfe_u32 v16, v16, 3, 4
	s_delay_alu instid0(VALU_DEP_2) | instskip(NEXT) | instid1(VALU_DEP_2)
	v_dual_sub_nc_u32 v18, 29, v18 :: v_dual_bitop2_b32 v19, 7, v19 bitop3:0x40
	v_cmp_eq_u32_e32 vcc_lo, 0, v16
	s_delay_alu instid0(VALU_DEP_2) | instskip(NEXT) | instid1(VALU_DEP_3)
	v_dual_cndmask_b32 v17, v17, v19 :: v_dual_lshlrev_b32 v20, 24, v9
	v_cndmask_b32_e32 v16, v16, v18, vcc_lo
	s_delay_alu instid0(VALU_DEP_2) | instskip(NEXT) | instid1(VALU_DEP_3)
	v_and_b32_e32 v18, 0x80000000, v20
	v_lshlrev_b32_e32 v17, 20, v17
	s_delay_alu instid0(VALU_DEP_3) | instskip(NEXT) | instid1(VALU_DEP_1)
	v_lshl_add_u32 v16, v16, 23, 0x3b800000
	v_or3_b32 v16, v18, v16, v17
	s_delay_alu instid0(VALU_DEP_1)
	v_cmp_u_f32_e32 vcc_lo, v16, v16
	v_cmp_o_f32_e64 s2, v16, v16
	s_and_b32 s16, vcc_lo, exec_lo
	s_and_b32 s15, s2, exec_lo
	s_or_b32 s13, s13, s16
	s_or_b32 exec_lo, exec_lo, s14
	s_and_saveexec_b32 s2, s13
	s_cbranch_execz .LBB3_33
.LBB3_61:                               ;   in Loop: Header=BB3_3 Depth=1
	s_or_b32 s15, s15, exec_lo
	global_store_b32 v2, v5, s[6:7] offset:20
	s_wait_xcnt 0x0
	s_or_b32 exec_lo, exec_lo, s2
	s_and_saveexec_b32 s2, s15
	s_cbranch_execz .LBB3_2
.LBB3_62:                               ;   in Loop: Header=BB3_3 Depth=1
	v_cmp_ne_u16_e32 vcc_lo, 0x80, v9
	s_and_b32 exec_lo, exec_lo, vcc_lo
	s_cbranch_execz .LBB3_2
; %bb.63:                               ;   in Loop: Header=BB3_3 Depth=1
	v_and_b32_e32 v16, 0xffff, v9
	s_delay_alu instid0(VALU_DEP_1) | instskip(NEXT) | instid1(VALU_DEP_1)
	v_and_b32_e32 v17, 7, v16
	v_clz_i32_u32_e32 v18, v17
	s_delay_alu instid0(VALU_DEP_1) | instskip(NEXT) | instid1(VALU_DEP_1)
	v_subrev_nc_u32_e32 v19, 28, v18
	v_lshlrev_b32_e32 v19, v19, v16
	v_bfe_u32 v16, v16, 3, 4
	s_delay_alu instid0(VALU_DEP_2) | instskip(NEXT) | instid1(VALU_DEP_2)
	v_dual_sub_nc_u32 v18, 29, v18 :: v_dual_bitop2_b32 v19, 7, v19 bitop3:0x40
	v_cmp_eq_u32_e32 vcc_lo, 0, v16
	s_delay_alu instid0(VALU_DEP_2) | instskip(NEXT) | instid1(VALU_DEP_3)
	v_dual_cndmask_b32 v17, v17, v19 :: v_dual_lshlrev_b32 v20, 24, v9
	v_cndmask_b32_e32 v16, v16, v18, vcc_lo
	s_delay_alu instid0(VALU_DEP_2) | instskip(NEXT) | instid1(VALU_DEP_3)
	v_and_b32_e32 v18, 0x80000000, v20
	v_lshlrev_b32_e32 v17, 20, v17
	s_delay_alu instid0(VALU_DEP_3) | instskip(NEXT) | instid1(VALU_DEP_1)
	v_lshl_add_u32 v16, v16, 23, 0x3b800000
	v_or3_b32 v16, v18, v16, v17
	s_delay_alu instid0(VALU_DEP_1)
	v_cmp_class_f32_e64 s13, v16, 0x204
	s_and_b32 exec_lo, exec_lo, s13
	s_cbranch_execz .LBB3_2
; %bb.64:                               ;   in Loop: Header=BB3_3 Depth=1
	global_store_b32 v2, v5, s[6:7] offset:24
	s_branch .LBB3_2
.LBB3_65:
	s_or_b32 exec_lo, exec_lo, s12
.LBB3_66:
	s_delay_alu instid0(SALU_CYCLE_1) | instskip(SKIP_4) | instid1(SALU_CYCLE_1)
	s_or_b32 exec_lo, exec_lo, s3
	s_load_b32 s0, s[0:1], 0x18
	s_wait_kmcnt 0x0
	s_bitcmp1_b32 s0, 0
	s_cselect_b32 s0, -1, 0
	s_and_b32 vcc_lo, exec_lo, s0
	s_cbranch_vccz .LBB3_100
; %bb.67:
	v_dual_mov_b32 v5, v3 :: v_dual_lshlrev_b32 v2, 4, v0
	s_mov_b32 s0, 0
	s_mov_b32 s1, exec_lo
	ds_store_b64 v2, v[4:5]
	v_and_b32_e32 v4, 0xff, v8
	s_delay_alu instid0(VALU_DEP_1)
	v_cmpx_lt_i16_e32 0x7f, v4
	s_xor_b32 s1, exec_lo, s1
	s_cbranch_execnz .LBB3_101
; %bb.68:
	s_or_saveexec_b32 s1, s1
	v_mov_b32_e32 v3, 0x7f800001
	s_xor_b32 exec_lo, exec_lo, s1
	s_cbranch_execnz .LBB3_104
.LBB3_69:
	s_or_b32 exec_lo, exec_lo, s1
	s_and_saveexec_b32 s1, s0
	s_cbranch_execz .LBB3_71
.LBB3_70:
	v_and_b32_e32 v3, 7, v8
	v_lshrrev_b16 v6, 3, v8
	v_lshlrev_b32_e32 v7, 24, v8
	s_delay_alu instid0(VALU_DEP_3) | instskip(NEXT) | instid1(VALU_DEP_3)
	v_clz_i32_u32_e32 v4, v3
	v_and_b32_e32 v6, 15, v6
	s_delay_alu instid0(VALU_DEP_2) | instskip(SKIP_1) | instid1(VALU_DEP_3)
	v_subrev_nc_u32_e32 v5, 28, v4
	v_sub_nc_u32_e32 v4, 29, v4
	v_cmp_eq_u32_e32 vcc_lo, 0, v6
	s_delay_alu instid0(VALU_DEP_3) | instskip(NEXT) | instid1(VALU_DEP_1)
	v_lshlrev_b32_e32 v5, v5, v8
	v_dual_cndmask_b32 v4, v6, v4, vcc_lo :: v_dual_bitop2_b32 v5, 7, v5 bitop3:0x40
	s_delay_alu instid0(VALU_DEP_1) | instskip(NEXT) | instid1(VALU_DEP_2)
	v_lshl_add_u32 v4, v4, 23, 0x3b800000
	v_cndmask_b32_e32 v3, v3, v5, vcc_lo
	v_and_b32_e32 v5, 0x80000000, v7
	s_delay_alu instid0(VALU_DEP_2) | instskip(NEXT) | instid1(VALU_DEP_1)
	v_lshlrev_b32_e32 v3, 20, v3
	v_or3_b32 v3, v5, v4, v3
.LBB3_71:
	s_or_b32 exec_lo, exec_lo, s1
	v_and_b32_e32 v4, 0xff, v1
	s_mov_b32 s0, 0
	s_mov_b32 s1, exec_lo
	ds_store_b32 v2, v3 offset:8
	v_cmpx_lt_i16_e32 0x7f, v4
	s_xor_b32 s1, exec_lo, s1
	s_cbranch_execnz .LBB3_105
; %bb.72:
	s_or_saveexec_b32 s1, s1
	v_mov_b32_e32 v3, 0x7f800001
	s_xor_b32 exec_lo, exec_lo, s1
	s_cbranch_execnz .LBB3_108
.LBB3_73:
	s_or_b32 exec_lo, exec_lo, s1
	s_and_saveexec_b32 s1, s0
	s_cbranch_execz .LBB3_75
.LBB3_74:
	v_and_b32_e32 v3, 7, v1
	v_lshrrev_b16 v6, 3, v1
	s_delay_alu instid0(VALU_DEP_2) | instskip(NEXT) | instid1(VALU_DEP_2)
	v_clz_i32_u32_e32 v4, v3
	v_and_b32_e32 v6, 15, v6
	s_delay_alu instid0(VALU_DEP_2) | instskip(SKIP_1) | instid1(VALU_DEP_3)
	v_subrev_nc_u32_e32 v5, 28, v4
	v_sub_nc_u32_e32 v4, 29, v4
	v_cmp_eq_u32_e32 vcc_lo, 0, v6
	s_delay_alu instid0(VALU_DEP_2) | instskip(NEXT) | instid1(VALU_DEP_1)
	v_dual_cndmask_b32 v4, v6, v4 :: v_dual_lshlrev_b32 v5, v5, v1
	v_and_b32_e32 v5, 7, v5
	s_delay_alu instid0(VALU_DEP_2) | instskip(NEXT) | instid1(VALU_DEP_2)
	v_lshl_add_u32 v4, v4, 23, 0x3b800000
	v_cndmask_b32_e32 v3, v3, v5, vcc_lo
	s_delay_alu instid0(VALU_DEP_1) | instskip(NEXT) | instid1(VALU_DEP_1)
	v_dual_lshlrev_b32 v1, 24, v1 :: v_dual_lshlrev_b32 v3, 20, v3
	v_and_b32_e32 v1, 0x80000000, v1
	s_delay_alu instid0(VALU_DEP_1)
	v_or3_b32 v3, v1, v4, v3
.LBB3_75:
	s_or_b32 exec_lo, exec_lo, s1
	s_delay_alu instid0(SALU_CYCLE_1)
	s_mov_b32 s0, exec_lo
	ds_store_b32 v2, v3 offset:12
	s_wait_storecnt_dscnt 0x0
	s_barrier_signal -1
	s_barrier_wait -1
	v_cmpx_gt_u32_e32 0x80, v0
	s_cbranch_execz .LBB3_77
; %bb.76:
	ds_load_b128 v[4:7], v2 offset:2048
	ds_load_b128 v[8:11], v2
	s_wait_dscnt 0x1
	v_dual_max_num_f32 v1, v6, v6 :: v_dual_max_num_f32 v7, v7, v7
	s_wait_dscnt 0x0
	v_dual_max_num_f32 v3, v10, v10 :: v_dual_max_num_f32 v10, v11, v11
	v_pk_add_f32 v[4:5], v[4:5], v[8:9]
	s_delay_alu instid0(VALU_DEP_2)
	v_dual_min_num_f32 v6, v3, v1 :: v_dual_max_num_f32 v7, v10, v7
	ds_store_b128 v2, v[4:7]
.LBB3_77:
	s_or_b32 exec_lo, exec_lo, s0
	s_delay_alu instid0(SALU_CYCLE_1)
	s_mov_b32 s0, exec_lo
	s_wait_dscnt 0x0
	s_barrier_signal -1
	s_barrier_wait -1
	v_cmpx_gt_u32_e32 64, v0
	s_cbranch_execz .LBB3_79
; %bb.78:
	ds_load_b128 v[4:7], v2 offset:1024
	ds_load_b128 v[8:11], v2
	s_wait_dscnt 0x1
	v_dual_max_num_f32 v1, v6, v6 :: v_dual_max_num_f32 v7, v7, v7
	s_wait_dscnt 0x0
	v_dual_max_num_f32 v3, v10, v10 :: v_dual_max_num_f32 v10, v11, v11
	v_pk_add_f32 v[4:5], v[4:5], v[8:9]
	s_delay_alu instid0(VALU_DEP_2)
	v_dual_min_num_f32 v6, v3, v1 :: v_dual_max_num_f32 v7, v10, v7
	ds_store_b128 v2, v[4:7]
.LBB3_79:
	s_or_b32 exec_lo, exec_lo, s0
	s_delay_alu instid0(SALU_CYCLE_1)
	s_mov_b32 s0, exec_lo
	s_wait_dscnt 0x0
	;; [unrolled: 20-line block ×6, first 2 shown]
	s_barrier_signal -1
	s_barrier_wait -1
	v_cmpx_gt_u32_e32 2, v0
	s_cbranch_execz .LBB3_89
; %bb.88:
	ds_load_b128 v[4:7], v2 offset:32
	ds_load_b128 v[8:11], v2
	s_wait_dscnt 0x1
	v_dual_max_num_f32 v1, v6, v6 :: v_dual_max_num_f32 v7, v7, v7
	s_wait_dscnt 0x0
	v_dual_max_num_f32 v3, v10, v10 :: v_dual_max_num_f32 v10, v11, v11
	v_pk_add_f32 v[4:5], v[4:5], v[8:9]
	s_delay_alu instid0(VALU_DEP_2)
	v_dual_min_num_f32 v6, v3, v1 :: v_dual_max_num_f32 v7, v10, v7
	ds_store_b128 v2, v[4:7]
.LBB3_89:
	s_or_b32 exec_lo, exec_lo, s0
	v_cmp_eq_u32_e32 vcc_lo, 0, v0
	s_wait_dscnt 0x0
	s_barrier_signal -1
	s_barrier_wait -1
	s_and_saveexec_b32 s0, vcc_lo
	s_cbranch_execz .LBB3_91
; %bb.90:
	ds_load_b128 v[4:7], v2 offset:16
	ds_load_b128 v[8:11], v2
	s_wait_dscnt 0x1
	v_dual_max_num_f32 v0, v6, v6 :: v_dual_max_num_f32 v3, v7, v7
	s_wait_dscnt 0x0
	v_dual_max_num_f32 v1, v10, v10 :: v_dual_max_num_f32 v7, v11, v11
	v_pk_add_f32 v[4:5], v[4:5], v[8:9]
	s_delay_alu instid0(VALU_DEP_2)
	v_dual_min_num_f32 v6, v1, v0 :: v_dual_max_num_f32 v7, v7, v3
	ds_store_b128 v2, v[4:7]
.LBB3_91:
	s_or_b32 exec_lo, exec_lo, s0
	s_wait_dscnt 0x0
	s_barrier_signal -1
	s_barrier_wait -1
	s_and_saveexec_b32 s0, vcc_lo
	s_cbranch_execz .LBB3_100
; %bb.92:
	s_mov_b32 s1, exec_lo
	s_mov_b32 s0, exec_lo
	v_mbcnt_lo_u32_b32 v0, s1, 0
	s_delay_alu instid0(VALU_DEP_1)
	v_cmpx_eq_u32_e32 0, v0
	s_cbranch_execz .LBB3_94
; %bb.93:
	s_bcnt1_i32_b32 s1, s1
	s_delay_alu instid0(SALU_CYCLE_1)
	v_cvt_f32_ubyte0_e32 v2, s1
	v_mov_b32_e32 v0, 0
	ds_load_b32 v1, v0
	s_wait_dscnt 0x0
	v_mul_f32_e32 v1, v1, v2
	global_atomic_add_f32 v0, v1, s[6:7] scope:SCOPE_DEV
.LBB3_94:
	s_wait_xcnt 0x0
	s_or_b32 exec_lo, exec_lo, s0
	s_delay_alu instid0(SALU_CYCLE_1) | instskip(SKIP_2) | instid1(VALU_DEP_1)
	s_mov_b32 s1, exec_lo
	s_mov_b32 s0, exec_lo
	v_mbcnt_lo_u32_b32 v0, s1, 0
	v_cmpx_eq_u32_e32 0, v0
	s_cbranch_execz .LBB3_96
; %bb.95:
	s_bcnt1_i32_b32 s1, s1
	s_delay_alu instid0(SALU_CYCLE_1)
	v_cvt_f32_ubyte0_e32 v2, s1
	v_mov_b32_e32 v0, 0
	ds_load_b32 v1, v0 offset:4
	s_wait_dscnt 0x0
	v_mul_f32_e32 v1, v1, v2
	global_atomic_add_f32 v0, v1, s[6:7] offset:4 scope:SCOPE_DEV
.LBB3_96:
	s_wait_xcnt 0x0
	s_or_b32 exec_lo, exec_lo, s0
	s_delay_alu instid0(SALU_CYCLE_1) | instskip(SKIP_1) | instid1(VALU_DEP_1)
	v_mbcnt_lo_u32_b32 v0, exec_lo, 0
	s_mov_b32 s0, exec_lo
	v_cmpx_eq_u32_e32 0, v0
	s_cbranch_execz .LBB3_98
; %bb.97:
	v_mov_b32_e32 v0, 0
	ds_load_b32 v1, v0 offset:8
	s_wait_dscnt 0x0
	global_atomic_min_num_f32 v0, v1, s[6:7] offset:8 scope:SCOPE_DEV
.LBB3_98:
	s_wait_xcnt 0x0
	s_or_b32 exec_lo, exec_lo, s0
	s_delay_alu instid0(SALU_CYCLE_1) | instskip(NEXT) | instid1(VALU_DEP_1)
	v_mbcnt_lo_u32_b32 v0, exec_lo, 0
	v_cmp_eq_u32_e32 vcc_lo, 0, v0
	s_and_b32 exec_lo, exec_lo, vcc_lo
	s_cbranch_execz .LBB3_100
; %bb.99:
	v_mov_b32_e32 v0, 0
	ds_load_b32 v1, v0 offset:12
	s_wait_dscnt 0x0
	global_atomic_max_num_f32 v0, v1, s[6:7] offset:12 scope:SCOPE_DEV
.LBB3_100:
	s_endpgm
.LBB3_101:
	s_mov_b32 s0, -1
	s_mov_b32 s2, exec_lo
	v_cmpx_eq_u16_e32 0x80, v4
; %bb.102:
	s_xor_b32 s0, exec_lo, -1
; %bb.103:
	s_or_b32 exec_lo, exec_lo, s2
	s_delay_alu instid0(SALU_CYCLE_1)
	s_and_b32 s0, s0, exec_lo
                                        ; implicit-def: $vgpr4
	s_or_saveexec_b32 s1, s1
	v_mov_b32_e32 v3, 0x7f800001
	s_xor_b32 exec_lo, exec_lo, s1
	s_cbranch_execz .LBB3_69
.LBB3_104:
	v_cmp_ne_u16_e32 vcc_lo, 0, v4
	v_and_b32_e32 v3, 0xffff, v4
	s_and_not1_b32 s0, s0, exec_lo
	s_and_b32 s2, vcc_lo, exec_lo
	s_delay_alu instid0(SALU_CYCLE_1)
	s_or_b32 s0, s0, s2
	s_or_b32 exec_lo, exec_lo, s1
	s_and_saveexec_b32 s1, s0
	s_cbranch_execnz .LBB3_70
	s_branch .LBB3_71
.LBB3_105:
	s_mov_b32 s0, -1
	s_mov_b32 s2, exec_lo
	v_cmpx_eq_u16_e32 0x80, v4
; %bb.106:
	s_xor_b32 s0, exec_lo, -1
; %bb.107:
	s_or_b32 exec_lo, exec_lo, s2
	s_delay_alu instid0(SALU_CYCLE_1)
	s_and_b32 s0, s0, exec_lo
                                        ; implicit-def: $vgpr4
	s_or_saveexec_b32 s1, s1
	v_mov_b32_e32 v3, 0x7f800001
	s_xor_b32 exec_lo, exec_lo, s1
	s_cbranch_execz .LBB3_73
.LBB3_108:
	v_cmp_ne_u16_e32 vcc_lo, 0, v4
	v_and_b32_e32 v3, 0xffff, v4
	s_and_not1_b32 s0, s0, exec_lo
	s_and_b32 s2, vcc_lo, exec_lo
	s_delay_alu instid0(SALU_CYCLE_1)
	s_or_b32 s0, s0, s2
	s_or_b32 exec_lo, exec_lo, s1
	s_and_saveexec_b32 s1, s0
	s_cbranch_execnz .LBB3_74
	s_branch .LBB3_75
	.section	.rodata,"a",@progbits
	.p2align	6, 0x0
	.amdhsa_kernel check_numerics_fp8
		.amdhsa_group_segment_fixed_size 4096
		.amdhsa_private_segment_fixed_size 0
		.amdhsa_kernarg_size 288
		.amdhsa_user_sgpr_count 2
		.amdhsa_user_sgpr_dispatch_ptr 0
		.amdhsa_user_sgpr_queue_ptr 0
		.amdhsa_user_sgpr_kernarg_segment_ptr 1
		.amdhsa_user_sgpr_dispatch_id 0
		.amdhsa_user_sgpr_kernarg_preload_length 0
		.amdhsa_user_sgpr_kernarg_preload_offset 0
		.amdhsa_user_sgpr_private_segment_size 0
		.amdhsa_wavefront_size32 1
		.amdhsa_uses_dynamic_stack 0
		.amdhsa_enable_private_segment 0
		.amdhsa_system_sgpr_workgroup_id_x 1
		.amdhsa_system_sgpr_workgroup_id_y 0
		.amdhsa_system_sgpr_workgroup_id_z 0
		.amdhsa_system_sgpr_workgroup_info 0
		.amdhsa_system_vgpr_workitem_id 0
		.amdhsa_next_free_vgpr 21
		.amdhsa_next_free_sgpr 17
		.amdhsa_named_barrier_count 0
		.amdhsa_reserve_vcc 1
		.amdhsa_float_round_mode_32 0
		.amdhsa_float_round_mode_16_64 0
		.amdhsa_float_denorm_mode_32 3
		.amdhsa_float_denorm_mode_16_64 3
		.amdhsa_fp16_overflow 0
		.amdhsa_memory_ordered 1
		.amdhsa_forward_progress 1
		.amdhsa_inst_pref_size 33
		.amdhsa_round_robin_scheduling 0
		.amdhsa_exception_fp_ieee_invalid_op 0
		.amdhsa_exception_fp_denorm_src 0
		.amdhsa_exception_fp_ieee_div_zero 0
		.amdhsa_exception_fp_ieee_overflow 0
		.amdhsa_exception_fp_ieee_underflow 0
		.amdhsa_exception_fp_ieee_inexact 0
		.amdhsa_exception_int_div_zero 0
	.end_amdhsa_kernel
	.text
.Lfunc_end3:
	.size	check_numerics_fp8, .Lfunc_end3-check_numerics_fp8
                                        ; -- End function
	.set check_numerics_fp8.num_vgpr, 21
	.set check_numerics_fp8.num_agpr, 0
	.set check_numerics_fp8.numbered_sgpr, 17
	.set check_numerics_fp8.num_named_barrier, 0
	.set check_numerics_fp8.private_seg_size, 0
	.set check_numerics_fp8.uses_vcc, 1
	.set check_numerics_fp8.uses_flat_scratch, 0
	.set check_numerics_fp8.has_dyn_sized_stack, 0
	.set check_numerics_fp8.has_recursion, 0
	.set check_numerics_fp8.has_indirect_call, 0
	.section	.AMDGPU.csdata,"",@progbits
; Kernel info:
; codeLenInByte = 4216
; TotalNumSgprs: 19
; NumVgprs: 21
; ScratchSize: 0
; MemoryBound: 0
; FloatMode: 240
; IeeeMode: 1
; LDSByteSize: 4096 bytes/workgroup (compile time only)
; SGPRBlocks: 0
; VGPRBlocks: 1
; NumSGPRsForWavesPerEU: 19
; NumVGPRsForWavesPerEU: 21
; NamedBarCnt: 0
; Occupancy: 16
; WaveLimiterHint : 0
; COMPUTE_PGM_RSRC2:SCRATCH_EN: 0
; COMPUTE_PGM_RSRC2:USER_SGPR: 2
; COMPUTE_PGM_RSRC2:TRAP_HANDLER: 0
; COMPUTE_PGM_RSRC2:TGID_X_EN: 1
; COMPUTE_PGM_RSRC2:TGID_Y_EN: 0
; COMPUTE_PGM_RSRC2:TGID_Z_EN: 0
; COMPUTE_PGM_RSRC2:TIDIG_COMP_CNT: 0
	.text
	.protected	check_numerics_bf8      ; -- Begin function check_numerics_bf8
	.globl	check_numerics_bf8
	.p2align	8
	.type	check_numerics_bf8,@function
check_numerics_bf8:                     ; @check_numerics_bf8
; %bb.0:
	s_load_b32 s2, s[0:1], 0x20
	s_bfe_u32 s3, ttmp6, 0x4000c
	s_and_b32 s4, ttmp6, 15
	s_add_co_i32 s3, s3, 1
	s_getreg_b32 s5, hwreg(HW_REG_IB_STS2, 6, 4)
	s_mul_i32 s3, ttmp9, s3
	s_mov_b32 s9, 0
	s_add_co_i32 s4, s4, s3
	s_cmp_eq_u32 s5, 0
	v_dual_mov_b32 v3, 0 :: v_dual_mov_b32 v1, 4
	s_cselect_b32 s3, ttmp9, s4
	s_add_nc_u64 s[4:5], s[0:1], 32
	v_mov_b32_e32 v8, 0x7f
	s_delay_alu instid0(VALU_DEP_2) | instskip(SKIP_3) | instid1(SALU_CYCLE_1)
	v_mov_b32_e32 v4, v3
	s_wait_kmcnt 0x0
	s_cmp_lt_u32 s3, s2
	s_cselect_b32 s8, 12, 18
	s_add_nc_u64 s[10:11], s[4:5], s[8:9]
	s_load_u16 s8, s[10:11], 0x0
	s_load_b128 s[4:7], s[0:1], 0x8
	s_wait_kmcnt 0x0
	v_mad_u32 v2, s3, s8, v0
	s_mov_b32 s3, exec_lo
	s_delay_alu instid0(VALU_DEP_1)
	v_cmpx_gt_u64_e64 s[4:5], v[2:3]
	s_cbranch_execz .LBB4_66
; %bb.1:
	s_load_b64 s[10:11], s[0:1], 0x0
	v_mov_b64_e32 v[6:7], v[2:3]
	v_dual_mov_b32 v1, 4 :: v_dual_mov_b32 v8, 0x7f
	v_dual_mov_b32 v2, 0 :: v_dual_mov_b32 v5, 1
	v_dual_mov_b32 v4, 0 :: v_dual_mov_b32 v3, 0
	s_mul_i32 s8, s2, s8
	s_mov_b32 s12, s9
	s_branch .LBB4_3
.LBB4_2:                                ;   in Loop: Header=BB4_3 Depth=1
	s_wait_xcnt 0x0
	s_or_b32 exec_lo, exec_lo, s2
	v_add_nc_u64_e32 v[6:7], s[8:9], v[6:7]
	v_cmp_gt_f32_e64 s2, v14, v15
	v_dual_add_f32 v3, v3, v11 :: v_dual_add_f32 v4, v4, v10
	s_delay_alu instid0(VALU_DEP_2) | instskip(SKIP_2) | instid1(VALU_DEP_2)
	v_cndmask_b32_e64 v1, v9, v1, s2
	v_cmp_lt_f32_e64 s2, v12, v13
	v_cmp_le_u64_e32 vcc_lo, s[4:5], v[6:7]
	v_cndmask_b32_e64 v8, v9, v8, s2
	s_or_b32 s12, vcc_lo, s12
	s_delay_alu instid0(SALU_CYCLE_1)
	s_and_not1_b32 exec_lo, exec_lo, s12
	s_cbranch_execz .LBB4_65
.LBB4_3:                                ; =>This Inner Loop Header: Depth=1
	s_wait_kmcnt 0x0
	v_add_nc_u64_e32 v[10:11], s[10:11], v[6:7]
	s_mov_b32 s2, 0
	s_mov_b32 s13, exec_lo
	global_load_u8 v9, v[10:11], off
	s_wait_loadcnt 0x0
	s_wait_xcnt 0x0
	v_cmpx_lt_i16_e32 0x7f, v9
	s_xor_b32 s13, exec_lo, s13
	s_cbranch_execnz .LBB4_34
; %bb.4:                                ;   in Loop: Header=BB4_3 Depth=1
	s_or_saveexec_b32 s13, s13
	v_mov_b32_e32 v10, 0x7f800001
	s_xor_b32 exec_lo, exec_lo, s13
	s_cbranch_execnz .LBB4_37
.LBB4_5:                                ;   in Loop: Header=BB4_3 Depth=1
	s_or_b32 exec_lo, exec_lo, s13
	s_and_saveexec_b32 s13, s2
	s_cbranch_execz .LBB4_7
.LBB4_6:                                ;   in Loop: Header=BB4_3 Depth=1
	v_and_b32_e32 v10, 0xffff, v9
	s_delay_alu instid0(VALU_DEP_1) | instskip(NEXT) | instid1(VALU_DEP_1)
	v_and_b32_e32 v11, 3, v10
	v_clz_i32_u32_e32 v12, v11
	s_delay_alu instid0(VALU_DEP_1) | instskip(NEXT) | instid1(VALU_DEP_1)
	v_subrev_nc_u32_e32 v13, 29, v12
	v_lshlrev_b32_e32 v13, v13, v10
	v_bfe_u32 v10, v10, 2, 5
	s_delay_alu instid0(VALU_DEP_2) | instskip(NEXT) | instid1(VALU_DEP_2)
	v_dual_sub_nc_u32 v12, 30, v12 :: v_dual_bitop2_b32 v13, 3, v13 bitop3:0x40
	v_cmp_eq_u32_e32 vcc_lo, 0, v10
	s_delay_alu instid0(VALU_DEP_2) | instskip(NEXT) | instid1(VALU_DEP_3)
	v_dual_lshlrev_b32 v14, 24, v9 :: v_dual_cndmask_b32 v10, v10, v12, vcc_lo
	v_cndmask_b32_e32 v11, v11, v13, vcc_lo
	s_delay_alu instid0(VALU_DEP_2) | instskip(NEXT) | instid1(VALU_DEP_3)
	v_and_b32_e32 v12, 0x80000000, v14
	v_lshl_add_u32 v10, v10, 23, 0x37800000
	s_delay_alu instid0(VALU_DEP_3) | instskip(NEXT) | instid1(VALU_DEP_1)
	v_lshlrev_b32_e32 v11, 21, v11
	v_or3_b32 v10, v12, v10, v11
.LBB4_7:                                ;   in Loop: Header=BB4_3 Depth=1
	s_or_b32 exec_lo, exec_lo, s13
	s_mov_b32 s2, 0
	s_mov_b32 s13, exec_lo
	v_cmpx_lt_i16_e32 0x7f, v9
	s_xor_b32 s13, exec_lo, s13
	s_cbranch_execnz .LBB4_38
; %bb.8:                                ;   in Loop: Header=BB4_3 Depth=1
	s_or_saveexec_b32 s13, s13
	v_mov_b32_e32 v11, 0x7f800001
	s_xor_b32 exec_lo, exec_lo, s13
	s_cbranch_execnz .LBB4_41
.LBB4_9:                                ;   in Loop: Header=BB4_3 Depth=1
	s_or_b32 exec_lo, exec_lo, s13
	s_and_saveexec_b32 s13, s2
	s_cbranch_execz .LBB4_11
.LBB4_10:                               ;   in Loop: Header=BB4_3 Depth=1
	v_and_b32_e32 v11, 0xffff, v9
	s_delay_alu instid0(VALU_DEP_1) | instskip(NEXT) | instid1(VALU_DEP_1)
	v_and_b32_e32 v12, 3, v11
	v_clz_i32_u32_e32 v13, v12
	s_delay_alu instid0(VALU_DEP_1) | instskip(NEXT) | instid1(VALU_DEP_1)
	v_subrev_nc_u32_e32 v14, 29, v13
	v_lshlrev_b32_e32 v14, v14, v11
	v_bfe_u32 v11, v11, 2, 5
	s_delay_alu instid0(VALU_DEP_2) | instskip(NEXT) | instid1(VALU_DEP_2)
	v_dual_sub_nc_u32 v13, 30, v13 :: v_dual_bitop2_b32 v14, 3, v14 bitop3:0x40
	v_cmp_eq_u32_e32 vcc_lo, 0, v11
	s_delay_alu instid0(VALU_DEP_2) | instskip(NEXT) | instid1(VALU_DEP_3)
	v_dual_cndmask_b32 v12, v12, v14 :: v_dual_lshlrev_b32 v15, 24, v9
	v_cndmask_b32_e32 v11, v11, v13, vcc_lo
	s_delay_alu instid0(VALU_DEP_2) | instskip(NEXT) | instid1(VALU_DEP_3)
	v_and_b32_e32 v13, 0x80000000, v15
	v_lshlrev_b32_e32 v12, 21, v12
	s_delay_alu instid0(VALU_DEP_3) | instskip(NEXT) | instid1(VALU_DEP_1)
	v_lshl_add_u32 v11, v11, 23, 0x37800000
	v_or3_b32 v11, v13, v11, v12
	s_delay_alu instid0(VALU_DEP_1)
	v_and_b32_e32 v11, 0x7fffffff, v11
.LBB4_11:                               ;   in Loop: Header=BB4_3 Depth=1
	s_or_b32 exec_lo, exec_lo, s13
	v_and_b32_e32 v13, 0xff, v8
	s_mov_b32 s2, 0
	s_mov_b32 s13, exec_lo
	s_delay_alu instid0(VALU_DEP_1)
	v_cmpx_lt_i16_e32 0x7f, v13
	s_xor_b32 s13, exec_lo, s13
	s_cbranch_execnz .LBB4_42
; %bb.12:                               ;   in Loop: Header=BB4_3 Depth=1
	s_or_saveexec_b32 s13, s13
	v_mov_b32_e32 v12, 0x7f800001
	s_xor_b32 exec_lo, exec_lo, s13
	s_cbranch_execnz .LBB4_45
.LBB4_13:                               ;   in Loop: Header=BB4_3 Depth=1
	s_or_b32 exec_lo, exec_lo, s13
	s_and_saveexec_b32 s13, s2
	s_cbranch_execz .LBB4_15
.LBB4_14:                               ;   in Loop: Header=BB4_3 Depth=1
	v_and_b32_e32 v12, 3, v8
	v_lshrrev_b16 v15, 2, v8
	v_lshlrev_b32_e32 v16, 24, v8
	s_delay_alu instid0(VALU_DEP_3) | instskip(NEXT) | instid1(VALU_DEP_3)
	v_clz_i32_u32_e32 v13, v12
	v_and_b32_e32 v15, 31, v15
	s_delay_alu instid0(VALU_DEP_2) | instskip(SKIP_1) | instid1(VALU_DEP_3)
	v_subrev_nc_u32_e32 v14, 29, v13
	v_sub_nc_u32_e32 v13, 30, v13
	v_cmp_eq_u32_e32 vcc_lo, 0, v15
	s_delay_alu instid0(VALU_DEP_2) | instskip(NEXT) | instid1(VALU_DEP_1)
	v_dual_cndmask_b32 v13, v15, v13 :: v_dual_lshlrev_b32 v14, v14, v8
	v_and_b32_e32 v14, 3, v14
	s_delay_alu instid0(VALU_DEP_2) | instskip(NEXT) | instid1(VALU_DEP_2)
	v_lshl_add_u32 v13, v13, 23, 0x37800000
	v_cndmask_b32_e32 v12, v12, v14, vcc_lo
	v_and_b32_e32 v14, 0x80000000, v16
	s_delay_alu instid0(VALU_DEP_2) | instskip(NEXT) | instid1(VALU_DEP_1)
	v_lshlrev_b32_e32 v12, 21, v12
	v_or3_b32 v12, v14, v13, v12
.LBB4_15:                               ;   in Loop: Header=BB4_3 Depth=1
	s_or_b32 exec_lo, exec_lo, s13
	s_mov_b32 s2, 0
	s_mov_b32 s13, exec_lo
	v_cmpx_lt_i16_e32 0x7f, v9
	s_xor_b32 s13, exec_lo, s13
	s_cbranch_execnz .LBB4_46
; %bb.16:                               ;   in Loop: Header=BB4_3 Depth=1
	s_or_saveexec_b32 s13, s13
	v_mov_b32_e32 v13, 0x7f800001
	s_xor_b32 exec_lo, exec_lo, s13
	s_cbranch_execnz .LBB4_49
.LBB4_17:                               ;   in Loop: Header=BB4_3 Depth=1
	s_or_b32 exec_lo, exec_lo, s13
	s_and_saveexec_b32 s13, s2
	s_cbranch_execz .LBB4_19
.LBB4_18:                               ;   in Loop: Header=BB4_3 Depth=1
	v_and_b32_e32 v13, 0xffff, v9
	s_delay_alu instid0(VALU_DEP_1) | instskip(NEXT) | instid1(VALU_DEP_1)
	v_and_b32_e32 v14, 3, v13
	v_clz_i32_u32_e32 v15, v14
	s_delay_alu instid0(VALU_DEP_1) | instskip(NEXT) | instid1(VALU_DEP_1)
	v_subrev_nc_u32_e32 v16, 29, v15
	v_lshlrev_b32_e32 v16, v16, v13
	v_bfe_u32 v13, v13, 2, 5
	s_delay_alu instid0(VALU_DEP_2) | instskip(NEXT) | instid1(VALU_DEP_2)
	v_dual_sub_nc_u32 v15, 30, v15 :: v_dual_bitop2_b32 v16, 3, v16 bitop3:0x40
	v_cmp_eq_u32_e32 vcc_lo, 0, v13
	s_delay_alu instid0(VALU_DEP_2) | instskip(NEXT) | instid1(VALU_DEP_3)
	v_dual_cndmask_b32 v14, v14, v16 :: v_dual_lshlrev_b32 v17, 24, v9
	v_cndmask_b32_e32 v13, v13, v15, vcc_lo
	s_delay_alu instid0(VALU_DEP_2) | instskip(NEXT) | instid1(VALU_DEP_3)
	v_and_b32_e32 v15, 0x80000000, v17
	v_lshlrev_b32_e32 v14, 21, v14
	s_delay_alu instid0(VALU_DEP_3) | instskip(NEXT) | instid1(VALU_DEP_1)
	v_lshl_add_u32 v13, v13, 23, 0x37800000
	v_or3_b32 v13, v15, v13, v14
.LBB4_19:                               ;   in Loop: Header=BB4_3 Depth=1
	s_or_b32 exec_lo, exec_lo, s13
	v_and_b32_e32 v15, 0xff, v1
	s_mov_b32 s2, 0
	s_mov_b32 s13, exec_lo
	s_delay_alu instid0(VALU_DEP_1)
	v_cmpx_lt_i16_e32 0x7f, v15
	s_xor_b32 s13, exec_lo, s13
	s_cbranch_execnz .LBB4_50
; %bb.20:                               ;   in Loop: Header=BB4_3 Depth=1
	s_or_saveexec_b32 s13, s13
	v_mov_b32_e32 v14, 0x7f800001
	s_xor_b32 exec_lo, exec_lo, s13
	s_cbranch_execnz .LBB4_53
.LBB4_21:                               ;   in Loop: Header=BB4_3 Depth=1
	s_or_b32 exec_lo, exec_lo, s13
	s_and_saveexec_b32 s13, s2
	s_cbranch_execz .LBB4_23
.LBB4_22:                               ;   in Loop: Header=BB4_3 Depth=1
	v_and_b32_e32 v14, 3, v1
	v_lshrrev_b16 v17, 2, v1
	v_lshlrev_b32_e32 v18, 24, v1
	s_delay_alu instid0(VALU_DEP_3) | instskip(NEXT) | instid1(VALU_DEP_3)
	v_clz_i32_u32_e32 v15, v14
	v_and_b32_e32 v17, 31, v17
	s_delay_alu instid0(VALU_DEP_2) | instskip(SKIP_1) | instid1(VALU_DEP_3)
	v_subrev_nc_u32_e32 v16, 29, v15
	v_sub_nc_u32_e32 v15, 30, v15
	v_cmp_eq_u32_e32 vcc_lo, 0, v17
	s_delay_alu instid0(VALU_DEP_2) | instskip(NEXT) | instid1(VALU_DEP_1)
	v_dual_cndmask_b32 v15, v17, v15 :: v_dual_lshlrev_b32 v16, v16, v1
	v_and_b32_e32 v16, 3, v16
	s_delay_alu instid0(VALU_DEP_2) | instskip(NEXT) | instid1(VALU_DEP_2)
	v_lshl_add_u32 v15, v15, 23, 0x37800000
	v_cndmask_b32_e32 v14, v14, v16, vcc_lo
	v_and_b32_e32 v16, 0x80000000, v18
	s_delay_alu instid0(VALU_DEP_2) | instskip(NEXT) | instid1(VALU_DEP_1)
	v_lshlrev_b32_e32 v14, 21, v14
	v_or3_b32 v14, v16, v15, v14
.LBB4_23:                               ;   in Loop: Header=BB4_3 Depth=1
	s_or_b32 exec_lo, exec_lo, s13
	s_mov_b32 s2, 0
	s_mov_b32 s13, exec_lo
	v_cmpx_lt_i16_e32 0x7f, v9
	s_xor_b32 s13, exec_lo, s13
	s_cbranch_execnz .LBB4_54
; %bb.24:                               ;   in Loop: Header=BB4_3 Depth=1
	s_or_saveexec_b32 s13, s13
	v_mov_b32_e32 v15, 0x7f800001
	s_xor_b32 exec_lo, exec_lo, s13
	s_cbranch_execnz .LBB4_57
.LBB4_25:                               ;   in Loop: Header=BB4_3 Depth=1
	s_or_b32 exec_lo, exec_lo, s13
	s_and_saveexec_b32 s13, s2
	s_cbranch_execz .LBB4_27
.LBB4_26:                               ;   in Loop: Header=BB4_3 Depth=1
	v_and_b32_e32 v15, 0xffff, v9
	s_delay_alu instid0(VALU_DEP_1) | instskip(NEXT) | instid1(VALU_DEP_1)
	v_and_b32_e32 v16, 3, v15
	v_clz_i32_u32_e32 v17, v16
	s_delay_alu instid0(VALU_DEP_1) | instskip(NEXT) | instid1(VALU_DEP_1)
	v_subrev_nc_u32_e32 v18, 29, v17
	v_lshlrev_b32_e32 v18, v18, v15
	v_bfe_u32 v15, v15, 2, 5
	s_delay_alu instid0(VALU_DEP_2) | instskip(NEXT) | instid1(VALU_DEP_2)
	v_dual_sub_nc_u32 v17, 30, v17 :: v_dual_bitop2_b32 v18, 3, v18 bitop3:0x40
	v_cmp_eq_u32_e32 vcc_lo, 0, v15
	s_delay_alu instid0(VALU_DEP_2) | instskip(NEXT) | instid1(VALU_DEP_3)
	v_dual_cndmask_b32 v16, v16, v18 :: v_dual_lshlrev_b32 v19, 24, v9
	v_cndmask_b32_e32 v15, v15, v17, vcc_lo
	s_delay_alu instid0(VALU_DEP_2) | instskip(NEXT) | instid1(VALU_DEP_3)
	v_and_b32_e32 v17, 0x80000000, v19
	v_lshlrev_b32_e32 v16, 21, v16
	s_delay_alu instid0(VALU_DEP_3) | instskip(NEXT) | instid1(VALU_DEP_1)
	v_lshl_add_u32 v15, v15, 23, 0x37800000
	v_or3_b32 v15, v17, v15, v16
.LBB4_27:                               ;   in Loop: Header=BB4_3 Depth=1
	s_or_b32 exec_lo, exec_lo, s13
	s_delay_alu instid0(SALU_CYCLE_1)
	s_mov_b32 s2, exec_lo
	v_cmpx_ge_f32_e32 0, v11
	s_cbranch_execz .LBB4_29
; %bb.28:                               ;   in Loop: Header=BB4_3 Depth=1
	global_store_b32 v2, v5, s[6:7] offset:16
.LBB4_29:                               ;   in Loop: Header=BB4_3 Depth=1
	s_wait_xcnt 0x0
	s_or_b32 exec_lo, exec_lo, s2
	s_mov_b32 s2, 0
	s_mov_b32 s13, 0
	s_mov_b32 s14, exec_lo
	v_cmpx_lt_i16_e32 0x7f, v9
	s_xor_b32 s14, exec_lo, s14
	s_cbranch_execnz .LBB4_58
; %bb.30:                               ;   in Loop: Header=BB4_3 Depth=1
	s_and_not1_saveexec_b32 s14, s14
	s_cbranch_execnz .LBB4_59
.LBB4_31:                               ;   in Loop: Header=BB4_3 Depth=1
	s_or_b32 exec_lo, exec_lo, s14
	s_mov_b32 s15, 0
	s_and_saveexec_b32 s14, s2
	s_cbranch_execnz .LBB4_60
.LBB4_32:                               ;   in Loop: Header=BB4_3 Depth=1
	s_or_b32 exec_lo, exec_lo, s14
	s_and_saveexec_b32 s2, s13
	s_cbranch_execnz .LBB4_61
.LBB4_33:                               ;   in Loop: Header=BB4_3 Depth=1
	s_or_b32 exec_lo, exec_lo, s2
	s_and_saveexec_b32 s2, s15
	s_cbranch_execz .LBB4_2
	s_branch .LBB4_62
.LBB4_34:                               ;   in Loop: Header=BB4_3 Depth=1
	s_mov_b32 s2, -1
	s_mov_b32 s14, exec_lo
	v_cmpx_eq_u16_e32 0x80, v9
; %bb.35:                               ;   in Loop: Header=BB4_3 Depth=1
	s_xor_b32 s2, exec_lo, -1
; %bb.36:                               ;   in Loop: Header=BB4_3 Depth=1
	s_or_b32 exec_lo, exec_lo, s14
	s_delay_alu instid0(SALU_CYCLE_1)
	s_and_b32 s2, s2, exec_lo
	s_or_saveexec_b32 s13, s13
	v_mov_b32_e32 v10, 0x7f800001
	s_xor_b32 exec_lo, exec_lo, s13
	s_cbranch_execz .LBB4_5
.LBB4_37:                               ;   in Loop: Header=BB4_3 Depth=1
	v_cmp_ne_u16_e32 vcc_lo, 0, v9
	v_mov_b32_e32 v10, 0
	s_and_not1_b32 s2, s2, exec_lo
	s_and_b32 s14, vcc_lo, exec_lo
	s_delay_alu instid0(SALU_CYCLE_1)
	s_or_b32 s2, s2, s14
	s_or_b32 exec_lo, exec_lo, s13
	s_and_saveexec_b32 s13, s2
	s_cbranch_execnz .LBB4_6
	s_branch .LBB4_7
.LBB4_38:                               ;   in Loop: Header=BB4_3 Depth=1
	s_mov_b32 s2, -1
	s_mov_b32 s14, exec_lo
	v_cmpx_eq_u16_e32 0x80, v9
; %bb.39:                               ;   in Loop: Header=BB4_3 Depth=1
	s_xor_b32 s2, exec_lo, -1
; %bb.40:                               ;   in Loop: Header=BB4_3 Depth=1
	s_or_b32 exec_lo, exec_lo, s14
	s_delay_alu instid0(SALU_CYCLE_1)
	s_and_b32 s2, s2, exec_lo
	s_or_saveexec_b32 s13, s13
	v_mov_b32_e32 v11, 0x7f800001
	s_xor_b32 exec_lo, exec_lo, s13
	s_cbranch_execz .LBB4_9
.LBB4_41:                               ;   in Loop: Header=BB4_3 Depth=1
	v_cmp_ne_u16_e32 vcc_lo, 0, v9
	v_mov_b32_e32 v11, 0
	s_and_not1_b32 s2, s2, exec_lo
	s_and_b32 s14, vcc_lo, exec_lo
	s_delay_alu instid0(SALU_CYCLE_1)
	s_or_b32 s2, s2, s14
	s_or_b32 exec_lo, exec_lo, s13
	s_and_saveexec_b32 s13, s2
	s_cbranch_execnz .LBB4_10
	s_branch .LBB4_11
.LBB4_42:                               ;   in Loop: Header=BB4_3 Depth=1
	s_mov_b32 s2, -1
	s_mov_b32 s14, exec_lo
	v_cmpx_eq_u16_e32 0x80, v13
; %bb.43:                               ;   in Loop: Header=BB4_3 Depth=1
	s_xor_b32 s2, exec_lo, -1
; %bb.44:                               ;   in Loop: Header=BB4_3 Depth=1
	s_or_b32 exec_lo, exec_lo, s14
	s_delay_alu instid0(SALU_CYCLE_1)
	s_and_b32 s2, s2, exec_lo
                                        ; implicit-def: $vgpr13
	s_or_saveexec_b32 s13, s13
	v_mov_b32_e32 v12, 0x7f800001
	s_xor_b32 exec_lo, exec_lo, s13
	s_cbranch_execz .LBB4_13
.LBB4_45:                               ;   in Loop: Header=BB4_3 Depth=1
	v_cmp_ne_u16_e32 vcc_lo, 0, v13
	v_mov_b32_e32 v12, 0
	s_and_not1_b32 s2, s2, exec_lo
	s_and_b32 s14, vcc_lo, exec_lo
	s_delay_alu instid0(SALU_CYCLE_1)
	s_or_b32 s2, s2, s14
	s_or_b32 exec_lo, exec_lo, s13
	s_and_saveexec_b32 s13, s2
	s_cbranch_execnz .LBB4_14
	s_branch .LBB4_15
.LBB4_46:                               ;   in Loop: Header=BB4_3 Depth=1
	s_mov_b32 s2, -1
	s_mov_b32 s14, exec_lo
	v_cmpx_eq_u16_e32 0x80, v9
; %bb.47:                               ;   in Loop: Header=BB4_3 Depth=1
	s_xor_b32 s2, exec_lo, -1
; %bb.48:                               ;   in Loop: Header=BB4_3 Depth=1
	s_or_b32 exec_lo, exec_lo, s14
	s_delay_alu instid0(SALU_CYCLE_1)
	s_and_b32 s2, s2, exec_lo
	s_or_saveexec_b32 s13, s13
	v_mov_b32_e32 v13, 0x7f800001
	s_xor_b32 exec_lo, exec_lo, s13
	s_cbranch_execz .LBB4_17
.LBB4_49:                               ;   in Loop: Header=BB4_3 Depth=1
	v_cmp_ne_u16_e32 vcc_lo, 0, v9
	v_mov_b32_e32 v13, 0
	s_and_not1_b32 s2, s2, exec_lo
	s_and_b32 s14, vcc_lo, exec_lo
	s_delay_alu instid0(SALU_CYCLE_1)
	s_or_b32 s2, s2, s14
	s_or_b32 exec_lo, exec_lo, s13
	s_and_saveexec_b32 s13, s2
	s_cbranch_execnz .LBB4_18
	s_branch .LBB4_19
.LBB4_50:                               ;   in Loop: Header=BB4_3 Depth=1
	s_mov_b32 s2, -1
	s_mov_b32 s14, exec_lo
	v_cmpx_eq_u16_e32 0x80, v15
; %bb.51:                               ;   in Loop: Header=BB4_3 Depth=1
	s_xor_b32 s2, exec_lo, -1
; %bb.52:                               ;   in Loop: Header=BB4_3 Depth=1
	s_or_b32 exec_lo, exec_lo, s14
	s_delay_alu instid0(SALU_CYCLE_1)
	s_and_b32 s2, s2, exec_lo
                                        ; implicit-def: $vgpr15
	s_or_saveexec_b32 s13, s13
	v_mov_b32_e32 v14, 0x7f800001
	s_xor_b32 exec_lo, exec_lo, s13
	s_cbranch_execz .LBB4_21
.LBB4_53:                               ;   in Loop: Header=BB4_3 Depth=1
	v_cmp_ne_u16_e32 vcc_lo, 0, v15
	v_mov_b32_e32 v14, 0
	s_and_not1_b32 s2, s2, exec_lo
	s_and_b32 s14, vcc_lo, exec_lo
	s_delay_alu instid0(SALU_CYCLE_1)
	s_or_b32 s2, s2, s14
	s_or_b32 exec_lo, exec_lo, s13
	s_and_saveexec_b32 s13, s2
	s_cbranch_execnz .LBB4_22
	s_branch .LBB4_23
.LBB4_54:                               ;   in Loop: Header=BB4_3 Depth=1
	s_mov_b32 s2, -1
	s_mov_b32 s14, exec_lo
	v_cmpx_eq_u16_e32 0x80, v9
; %bb.55:                               ;   in Loop: Header=BB4_3 Depth=1
	s_xor_b32 s2, exec_lo, -1
; %bb.56:                               ;   in Loop: Header=BB4_3 Depth=1
	s_or_b32 exec_lo, exec_lo, s14
	s_delay_alu instid0(SALU_CYCLE_1)
	s_and_b32 s2, s2, exec_lo
	s_or_saveexec_b32 s13, s13
	v_mov_b32_e32 v15, 0x7f800001
	s_xor_b32 exec_lo, exec_lo, s13
	s_cbranch_execz .LBB4_25
.LBB4_57:                               ;   in Loop: Header=BB4_3 Depth=1
	v_cmp_ne_u16_e32 vcc_lo, 0, v9
	v_mov_b32_e32 v15, 0
	s_and_not1_b32 s2, s2, exec_lo
	s_and_b32 s14, vcc_lo, exec_lo
	s_delay_alu instid0(SALU_CYCLE_1)
	s_or_b32 s2, s2, s14
	s_or_b32 exec_lo, exec_lo, s13
	s_and_saveexec_b32 s13, s2
	s_cbranch_execnz .LBB4_26
	s_branch .LBB4_27
.LBB4_58:                               ;   in Loop: Header=BB4_3 Depth=1
	v_cmp_ne_u16_e32 vcc_lo, 0x80, v9
	s_mov_b32 s13, exec_lo
	s_and_b32 s2, vcc_lo, exec_lo
	s_and_not1_saveexec_b32 s14, s14
	s_cbranch_execz .LBB4_31
.LBB4_59:                               ;   in Loop: Header=BB4_3 Depth=1
	v_cmp_ne_u16_e32 vcc_lo, 0, v9
	s_and_not1_b32 s2, s2, exec_lo
	s_and_b32 s15, vcc_lo, exec_lo
	s_delay_alu instid0(SALU_CYCLE_1)
	s_or_b32 s2, s2, s15
	s_or_b32 exec_lo, exec_lo, s14
	s_mov_b32 s15, 0
	s_and_saveexec_b32 s14, s2
	s_cbranch_execz .LBB4_32
.LBB4_60:                               ;   in Loop: Header=BB4_3 Depth=1
	v_and_b32_e32 v16, 0xffff, v9
	s_and_not1_b32 s13, s13, exec_lo
	s_delay_alu instid0(VALU_DEP_1) | instskip(NEXT) | instid1(VALU_DEP_1)
	v_and_b32_e32 v17, 3, v16
	v_clz_i32_u32_e32 v18, v17
	s_delay_alu instid0(VALU_DEP_1) | instskip(NEXT) | instid1(VALU_DEP_1)
	v_subrev_nc_u32_e32 v19, 29, v18
	v_lshlrev_b32_e32 v19, v19, v16
	v_bfe_u32 v16, v16, 2, 5
	s_delay_alu instid0(VALU_DEP_2) | instskip(NEXT) | instid1(VALU_DEP_2)
	v_dual_sub_nc_u32 v18, 30, v18 :: v_dual_bitop2_b32 v19, 3, v19 bitop3:0x40
	v_cmp_eq_u32_e32 vcc_lo, 0, v16
	s_delay_alu instid0(VALU_DEP_2) | instskip(NEXT) | instid1(VALU_DEP_3)
	v_dual_cndmask_b32 v17, v17, v19 :: v_dual_lshlrev_b32 v20, 24, v9
	v_cndmask_b32_e32 v16, v16, v18, vcc_lo
	s_delay_alu instid0(VALU_DEP_2) | instskip(NEXT) | instid1(VALU_DEP_3)
	v_and_b32_e32 v18, 0x80000000, v20
	v_lshlrev_b32_e32 v17, 21, v17
	s_delay_alu instid0(VALU_DEP_3) | instskip(NEXT) | instid1(VALU_DEP_1)
	v_lshl_add_u32 v16, v16, 23, 0x37800000
	v_or3_b32 v16, v18, v16, v17
	s_delay_alu instid0(VALU_DEP_1)
	v_cmp_u_f32_e32 vcc_lo, v16, v16
	v_cmp_o_f32_e64 s2, v16, v16
	s_and_b32 s16, vcc_lo, exec_lo
	s_and_b32 s15, s2, exec_lo
	s_or_b32 s13, s13, s16
	s_or_b32 exec_lo, exec_lo, s14
	s_and_saveexec_b32 s2, s13
	s_cbranch_execz .LBB4_33
.LBB4_61:                               ;   in Loop: Header=BB4_3 Depth=1
	s_or_b32 s15, s15, exec_lo
	global_store_b32 v2, v5, s[6:7] offset:20
	s_wait_xcnt 0x0
	s_or_b32 exec_lo, exec_lo, s2
	s_and_saveexec_b32 s2, s15
	s_cbranch_execz .LBB4_2
.LBB4_62:                               ;   in Loop: Header=BB4_3 Depth=1
	v_cmp_ne_u16_e32 vcc_lo, 0x80, v9
	s_and_b32 exec_lo, exec_lo, vcc_lo
	s_cbranch_execz .LBB4_2
; %bb.63:                               ;   in Loop: Header=BB4_3 Depth=1
	v_and_b32_e32 v16, 0xffff, v9
	s_delay_alu instid0(VALU_DEP_1) | instskip(NEXT) | instid1(VALU_DEP_1)
	v_and_b32_e32 v17, 3, v16
	v_clz_i32_u32_e32 v18, v17
	s_delay_alu instid0(VALU_DEP_1) | instskip(NEXT) | instid1(VALU_DEP_1)
	v_subrev_nc_u32_e32 v19, 29, v18
	v_lshlrev_b32_e32 v19, v19, v16
	v_bfe_u32 v16, v16, 2, 5
	s_delay_alu instid0(VALU_DEP_2) | instskip(NEXT) | instid1(VALU_DEP_2)
	v_dual_sub_nc_u32 v18, 30, v18 :: v_dual_bitop2_b32 v19, 3, v19 bitop3:0x40
	v_cmp_eq_u32_e32 vcc_lo, 0, v16
	s_delay_alu instid0(VALU_DEP_2) | instskip(NEXT) | instid1(VALU_DEP_3)
	v_dual_cndmask_b32 v17, v17, v19 :: v_dual_lshlrev_b32 v20, 24, v9
	v_cndmask_b32_e32 v16, v16, v18, vcc_lo
	s_delay_alu instid0(VALU_DEP_2) | instskip(NEXT) | instid1(VALU_DEP_3)
	v_and_b32_e32 v18, 0x80000000, v20
	v_lshlrev_b32_e32 v17, 21, v17
	s_delay_alu instid0(VALU_DEP_3) | instskip(NEXT) | instid1(VALU_DEP_1)
	v_lshl_add_u32 v16, v16, 23, 0x37800000
	v_or3_b32 v16, v18, v16, v17
	s_delay_alu instid0(VALU_DEP_1)
	v_cmp_class_f32_e64 s13, v16, 0x204
	s_and_b32 exec_lo, exec_lo, s13
	s_cbranch_execz .LBB4_2
; %bb.64:                               ;   in Loop: Header=BB4_3 Depth=1
	global_store_b32 v2, v5, s[6:7] offset:24
	s_branch .LBB4_2
.LBB4_65:
	s_or_b32 exec_lo, exec_lo, s12
.LBB4_66:
	s_delay_alu instid0(SALU_CYCLE_1) | instskip(SKIP_4) | instid1(SALU_CYCLE_1)
	s_or_b32 exec_lo, exec_lo, s3
	s_load_b32 s0, s[0:1], 0x18
	s_wait_kmcnt 0x0
	s_bitcmp1_b32 s0, 0
	s_cselect_b32 s0, -1, 0
	s_and_b32 vcc_lo, exec_lo, s0
	s_cbranch_vccz .LBB4_100
; %bb.67:
	v_dual_mov_b32 v5, v3 :: v_dual_lshlrev_b32 v2, 4, v0
	s_mov_b32 s0, 0
	s_mov_b32 s1, exec_lo
	ds_store_b64 v2, v[4:5]
	v_and_b32_e32 v4, 0xff, v8
	s_delay_alu instid0(VALU_DEP_1)
	v_cmpx_lt_i16_e32 0x7f, v4
	s_xor_b32 s1, exec_lo, s1
	s_cbranch_execnz .LBB4_101
; %bb.68:
	s_or_saveexec_b32 s1, s1
	v_mov_b32_e32 v3, 0x7f800001
	s_xor_b32 exec_lo, exec_lo, s1
	s_cbranch_execnz .LBB4_104
.LBB4_69:
	s_or_b32 exec_lo, exec_lo, s1
	s_and_saveexec_b32 s1, s0
	s_cbranch_execz .LBB4_71
.LBB4_70:
	v_and_b32_e32 v3, 3, v8
	v_lshrrev_b16 v6, 2, v8
	v_lshlrev_b32_e32 v7, 24, v8
	s_delay_alu instid0(VALU_DEP_3) | instskip(NEXT) | instid1(VALU_DEP_3)
	v_clz_i32_u32_e32 v4, v3
	v_and_b32_e32 v6, 31, v6
	s_delay_alu instid0(VALU_DEP_2) | instskip(SKIP_1) | instid1(VALU_DEP_3)
	v_subrev_nc_u32_e32 v5, 29, v4
	v_sub_nc_u32_e32 v4, 30, v4
	v_cmp_eq_u32_e32 vcc_lo, 0, v6
	s_delay_alu instid0(VALU_DEP_3) | instskip(NEXT) | instid1(VALU_DEP_1)
	v_lshlrev_b32_e32 v5, v5, v8
	v_dual_cndmask_b32 v4, v6, v4, vcc_lo :: v_dual_bitop2_b32 v5, 3, v5 bitop3:0x40
	s_delay_alu instid0(VALU_DEP_1) | instskip(NEXT) | instid1(VALU_DEP_2)
	v_lshl_add_u32 v4, v4, 23, 0x37800000
	v_cndmask_b32_e32 v3, v3, v5, vcc_lo
	v_and_b32_e32 v5, 0x80000000, v7
	s_delay_alu instid0(VALU_DEP_2) | instskip(NEXT) | instid1(VALU_DEP_1)
	v_lshlrev_b32_e32 v3, 21, v3
	v_or3_b32 v3, v5, v4, v3
.LBB4_71:
	s_or_b32 exec_lo, exec_lo, s1
	v_and_b32_e32 v4, 0xff, v1
	s_mov_b32 s0, 0
	s_mov_b32 s1, exec_lo
	ds_store_b32 v2, v3 offset:8
	v_cmpx_lt_i16_e32 0x7f, v4
	s_xor_b32 s1, exec_lo, s1
	s_cbranch_execnz .LBB4_105
; %bb.72:
	s_or_saveexec_b32 s1, s1
	v_mov_b32_e32 v3, 0x7f800001
	s_xor_b32 exec_lo, exec_lo, s1
	s_cbranch_execnz .LBB4_108
.LBB4_73:
	s_or_b32 exec_lo, exec_lo, s1
	s_and_saveexec_b32 s1, s0
	s_cbranch_execz .LBB4_75
.LBB4_74:
	v_and_b32_e32 v3, 3, v1
	v_lshrrev_b16 v6, 2, v1
	s_delay_alu instid0(VALU_DEP_2) | instskip(NEXT) | instid1(VALU_DEP_2)
	v_clz_i32_u32_e32 v4, v3
	v_and_b32_e32 v6, 31, v6
	s_delay_alu instid0(VALU_DEP_2) | instskip(SKIP_1) | instid1(VALU_DEP_3)
	v_subrev_nc_u32_e32 v5, 29, v4
	v_sub_nc_u32_e32 v4, 30, v4
	v_cmp_eq_u32_e32 vcc_lo, 0, v6
	s_delay_alu instid0(VALU_DEP_2) | instskip(NEXT) | instid1(VALU_DEP_1)
	v_dual_cndmask_b32 v4, v6, v4 :: v_dual_lshlrev_b32 v5, v5, v1
	v_and_b32_e32 v5, 3, v5
	s_delay_alu instid0(VALU_DEP_2) | instskip(NEXT) | instid1(VALU_DEP_2)
	v_lshl_add_u32 v4, v4, 23, 0x37800000
	v_cndmask_b32_e32 v3, v3, v5, vcc_lo
	s_delay_alu instid0(VALU_DEP_1) | instskip(NEXT) | instid1(VALU_DEP_1)
	v_dual_lshlrev_b32 v1, 24, v1 :: v_dual_lshlrev_b32 v3, 21, v3
	v_and_b32_e32 v1, 0x80000000, v1
	s_delay_alu instid0(VALU_DEP_1)
	v_or3_b32 v3, v1, v4, v3
.LBB4_75:
	s_or_b32 exec_lo, exec_lo, s1
	s_delay_alu instid0(SALU_CYCLE_1)
	s_mov_b32 s0, exec_lo
	ds_store_b32 v2, v3 offset:12
	s_wait_storecnt_dscnt 0x0
	s_barrier_signal -1
	s_barrier_wait -1
	v_cmpx_gt_u32_e32 0x80, v0
	s_cbranch_execz .LBB4_77
; %bb.76:
	ds_load_b128 v[4:7], v2 offset:2048
	ds_load_b128 v[8:11], v2
	s_wait_dscnt 0x1
	v_dual_max_num_f32 v1, v6, v6 :: v_dual_max_num_f32 v7, v7, v7
	s_wait_dscnt 0x0
	v_dual_max_num_f32 v3, v10, v10 :: v_dual_max_num_f32 v10, v11, v11
	v_pk_add_f32 v[4:5], v[4:5], v[8:9]
	s_delay_alu instid0(VALU_DEP_2)
	v_dual_min_num_f32 v6, v3, v1 :: v_dual_max_num_f32 v7, v10, v7
	ds_store_b128 v2, v[4:7]
.LBB4_77:
	s_or_b32 exec_lo, exec_lo, s0
	s_delay_alu instid0(SALU_CYCLE_1)
	s_mov_b32 s0, exec_lo
	s_wait_dscnt 0x0
	s_barrier_signal -1
	s_barrier_wait -1
	v_cmpx_gt_u32_e32 64, v0
	s_cbranch_execz .LBB4_79
; %bb.78:
	ds_load_b128 v[4:7], v2 offset:1024
	ds_load_b128 v[8:11], v2
	s_wait_dscnt 0x1
	v_dual_max_num_f32 v1, v6, v6 :: v_dual_max_num_f32 v7, v7, v7
	s_wait_dscnt 0x0
	v_dual_max_num_f32 v3, v10, v10 :: v_dual_max_num_f32 v10, v11, v11
	v_pk_add_f32 v[4:5], v[4:5], v[8:9]
	s_delay_alu instid0(VALU_DEP_2)
	v_dual_min_num_f32 v6, v3, v1 :: v_dual_max_num_f32 v7, v10, v7
	ds_store_b128 v2, v[4:7]
.LBB4_79:
	s_or_b32 exec_lo, exec_lo, s0
	s_delay_alu instid0(SALU_CYCLE_1)
	s_mov_b32 s0, exec_lo
	s_wait_dscnt 0x0
	;; [unrolled: 20-line block ×6, first 2 shown]
	s_barrier_signal -1
	s_barrier_wait -1
	v_cmpx_gt_u32_e32 2, v0
	s_cbranch_execz .LBB4_89
; %bb.88:
	ds_load_b128 v[4:7], v2 offset:32
	ds_load_b128 v[8:11], v2
	s_wait_dscnt 0x1
	v_dual_max_num_f32 v1, v6, v6 :: v_dual_max_num_f32 v7, v7, v7
	s_wait_dscnt 0x0
	v_dual_max_num_f32 v3, v10, v10 :: v_dual_max_num_f32 v10, v11, v11
	v_pk_add_f32 v[4:5], v[4:5], v[8:9]
	s_delay_alu instid0(VALU_DEP_2)
	v_dual_min_num_f32 v6, v3, v1 :: v_dual_max_num_f32 v7, v10, v7
	ds_store_b128 v2, v[4:7]
.LBB4_89:
	s_or_b32 exec_lo, exec_lo, s0
	v_cmp_eq_u32_e32 vcc_lo, 0, v0
	s_wait_dscnt 0x0
	s_barrier_signal -1
	s_barrier_wait -1
	s_and_saveexec_b32 s0, vcc_lo
	s_cbranch_execz .LBB4_91
; %bb.90:
	ds_load_b128 v[4:7], v2 offset:16
	ds_load_b128 v[8:11], v2
	s_wait_dscnt 0x1
	v_dual_max_num_f32 v0, v6, v6 :: v_dual_max_num_f32 v3, v7, v7
	s_wait_dscnt 0x0
	v_dual_max_num_f32 v1, v10, v10 :: v_dual_max_num_f32 v7, v11, v11
	v_pk_add_f32 v[4:5], v[4:5], v[8:9]
	s_delay_alu instid0(VALU_DEP_2)
	v_dual_min_num_f32 v6, v1, v0 :: v_dual_max_num_f32 v7, v7, v3
	ds_store_b128 v2, v[4:7]
.LBB4_91:
	s_or_b32 exec_lo, exec_lo, s0
	s_wait_dscnt 0x0
	s_barrier_signal -1
	s_barrier_wait -1
	s_and_saveexec_b32 s0, vcc_lo
	s_cbranch_execz .LBB4_100
; %bb.92:
	s_mov_b32 s1, exec_lo
	s_mov_b32 s0, exec_lo
	v_mbcnt_lo_u32_b32 v0, s1, 0
	s_delay_alu instid0(VALU_DEP_1)
	v_cmpx_eq_u32_e32 0, v0
	s_cbranch_execz .LBB4_94
; %bb.93:
	s_bcnt1_i32_b32 s1, s1
	s_delay_alu instid0(SALU_CYCLE_1)
	v_cvt_f32_ubyte0_e32 v2, s1
	v_mov_b32_e32 v0, 0
	ds_load_b32 v1, v0
	s_wait_dscnt 0x0
	v_mul_f32_e32 v1, v1, v2
	global_atomic_add_f32 v0, v1, s[6:7] scope:SCOPE_DEV
.LBB4_94:
	s_wait_xcnt 0x0
	s_or_b32 exec_lo, exec_lo, s0
	s_delay_alu instid0(SALU_CYCLE_1) | instskip(SKIP_2) | instid1(VALU_DEP_1)
	s_mov_b32 s1, exec_lo
	s_mov_b32 s0, exec_lo
	v_mbcnt_lo_u32_b32 v0, s1, 0
	v_cmpx_eq_u32_e32 0, v0
	s_cbranch_execz .LBB4_96
; %bb.95:
	s_bcnt1_i32_b32 s1, s1
	s_delay_alu instid0(SALU_CYCLE_1)
	v_cvt_f32_ubyte0_e32 v2, s1
	v_mov_b32_e32 v0, 0
	ds_load_b32 v1, v0 offset:4
	s_wait_dscnt 0x0
	v_mul_f32_e32 v1, v1, v2
	global_atomic_add_f32 v0, v1, s[6:7] offset:4 scope:SCOPE_DEV
.LBB4_96:
	s_wait_xcnt 0x0
	s_or_b32 exec_lo, exec_lo, s0
	s_delay_alu instid0(SALU_CYCLE_1) | instskip(SKIP_1) | instid1(VALU_DEP_1)
	v_mbcnt_lo_u32_b32 v0, exec_lo, 0
	s_mov_b32 s0, exec_lo
	v_cmpx_eq_u32_e32 0, v0
	s_cbranch_execz .LBB4_98
; %bb.97:
	v_mov_b32_e32 v0, 0
	ds_load_b32 v1, v0 offset:8
	s_wait_dscnt 0x0
	global_atomic_min_num_f32 v0, v1, s[6:7] offset:8 scope:SCOPE_DEV
.LBB4_98:
	s_wait_xcnt 0x0
	s_or_b32 exec_lo, exec_lo, s0
	s_delay_alu instid0(SALU_CYCLE_1) | instskip(NEXT) | instid1(VALU_DEP_1)
	v_mbcnt_lo_u32_b32 v0, exec_lo, 0
	v_cmp_eq_u32_e32 vcc_lo, 0, v0
	s_and_b32 exec_lo, exec_lo, vcc_lo
	s_cbranch_execz .LBB4_100
; %bb.99:
	v_mov_b32_e32 v0, 0
	ds_load_b32 v1, v0 offset:12
	s_wait_dscnt 0x0
	global_atomic_max_num_f32 v0, v1, s[6:7] offset:12 scope:SCOPE_DEV
.LBB4_100:
	s_endpgm
.LBB4_101:
	s_mov_b32 s0, -1
	s_mov_b32 s2, exec_lo
	v_cmpx_eq_u16_e32 0x80, v4
; %bb.102:
	s_xor_b32 s0, exec_lo, -1
; %bb.103:
	s_or_b32 exec_lo, exec_lo, s2
	s_delay_alu instid0(SALU_CYCLE_1)
	s_and_b32 s0, s0, exec_lo
                                        ; implicit-def: $vgpr4
	s_or_saveexec_b32 s1, s1
	v_mov_b32_e32 v3, 0x7f800001
	s_xor_b32 exec_lo, exec_lo, s1
	s_cbranch_execz .LBB4_69
.LBB4_104:
	v_cmp_ne_u16_e32 vcc_lo, 0, v4
	v_and_b32_e32 v3, 0xffff, v4
	s_and_not1_b32 s0, s0, exec_lo
	s_and_b32 s2, vcc_lo, exec_lo
	s_delay_alu instid0(SALU_CYCLE_1)
	s_or_b32 s0, s0, s2
	s_or_b32 exec_lo, exec_lo, s1
	s_and_saveexec_b32 s1, s0
	s_cbranch_execnz .LBB4_70
	s_branch .LBB4_71
.LBB4_105:
	s_mov_b32 s0, -1
	s_mov_b32 s2, exec_lo
	v_cmpx_eq_u16_e32 0x80, v4
; %bb.106:
	s_xor_b32 s0, exec_lo, -1
; %bb.107:
	s_or_b32 exec_lo, exec_lo, s2
	s_delay_alu instid0(SALU_CYCLE_1)
	s_and_b32 s0, s0, exec_lo
                                        ; implicit-def: $vgpr4
	s_or_saveexec_b32 s1, s1
	v_mov_b32_e32 v3, 0x7f800001
	s_xor_b32 exec_lo, exec_lo, s1
	s_cbranch_execz .LBB4_73
.LBB4_108:
	v_cmp_ne_u16_e32 vcc_lo, 0, v4
	v_and_b32_e32 v3, 0xffff, v4
	s_and_not1_b32 s0, s0, exec_lo
	s_and_b32 s2, vcc_lo, exec_lo
	s_delay_alu instid0(SALU_CYCLE_1)
	s_or_b32 s0, s0, s2
	s_or_b32 exec_lo, exec_lo, s1
	s_and_saveexec_b32 s1, s0
	s_cbranch_execnz .LBB4_74
	s_branch .LBB4_75
	.section	.rodata,"a",@progbits
	.p2align	6, 0x0
	.amdhsa_kernel check_numerics_bf8
		.amdhsa_group_segment_fixed_size 4096
		.amdhsa_private_segment_fixed_size 0
		.amdhsa_kernarg_size 288
		.amdhsa_user_sgpr_count 2
		.amdhsa_user_sgpr_dispatch_ptr 0
		.amdhsa_user_sgpr_queue_ptr 0
		.amdhsa_user_sgpr_kernarg_segment_ptr 1
		.amdhsa_user_sgpr_dispatch_id 0
		.amdhsa_user_sgpr_kernarg_preload_length 0
		.amdhsa_user_sgpr_kernarg_preload_offset 0
		.amdhsa_user_sgpr_private_segment_size 0
		.amdhsa_wavefront_size32 1
		.amdhsa_uses_dynamic_stack 0
		.amdhsa_enable_private_segment 0
		.amdhsa_system_sgpr_workgroup_id_x 1
		.amdhsa_system_sgpr_workgroup_id_y 0
		.amdhsa_system_sgpr_workgroup_id_z 0
		.amdhsa_system_sgpr_workgroup_info 0
		.amdhsa_system_vgpr_workitem_id 0
		.amdhsa_next_free_vgpr 21
		.amdhsa_next_free_sgpr 17
		.amdhsa_named_barrier_count 0
		.amdhsa_reserve_vcc 1
		.amdhsa_float_round_mode_32 0
		.amdhsa_float_round_mode_16_64 0
		.amdhsa_float_denorm_mode_32 3
		.amdhsa_float_denorm_mode_16_64 3
		.amdhsa_fp16_overflow 0
		.amdhsa_memory_ordered 1
		.amdhsa_forward_progress 1
		.amdhsa_inst_pref_size 33
		.amdhsa_round_robin_scheduling 0
		.amdhsa_exception_fp_ieee_invalid_op 0
		.amdhsa_exception_fp_denorm_src 0
		.amdhsa_exception_fp_ieee_div_zero 0
		.amdhsa_exception_fp_ieee_overflow 0
		.amdhsa_exception_fp_ieee_underflow 0
		.amdhsa_exception_fp_ieee_inexact 0
		.amdhsa_exception_int_div_zero 0
	.end_amdhsa_kernel
	.text
.Lfunc_end4:
	.size	check_numerics_bf8, .Lfunc_end4-check_numerics_bf8
                                        ; -- End function
	.set check_numerics_bf8.num_vgpr, 21
	.set check_numerics_bf8.num_agpr, 0
	.set check_numerics_bf8.numbered_sgpr, 17
	.set check_numerics_bf8.num_named_barrier, 0
	.set check_numerics_bf8.private_seg_size, 0
	.set check_numerics_bf8.uses_vcc, 1
	.set check_numerics_bf8.uses_flat_scratch, 0
	.set check_numerics_bf8.has_dyn_sized_stack, 0
	.set check_numerics_bf8.has_recursion, 0
	.set check_numerics_bf8.has_indirect_call, 0
	.section	.AMDGPU.csdata,"",@progbits
; Kernel info:
; codeLenInByte = 4216
; TotalNumSgprs: 19
; NumVgprs: 21
; ScratchSize: 0
; MemoryBound: 0
; FloatMode: 240
; IeeeMode: 1
; LDSByteSize: 4096 bytes/workgroup (compile time only)
; SGPRBlocks: 0
; VGPRBlocks: 1
; NumSGPRsForWavesPerEU: 19
; NumVGPRsForWavesPerEU: 21
; NamedBarCnt: 0
; Occupancy: 16
; WaveLimiterHint : 0
; COMPUTE_PGM_RSRC2:SCRATCH_EN: 0
; COMPUTE_PGM_RSRC2:USER_SGPR: 2
; COMPUTE_PGM_RSRC2:TRAP_HANDLER: 0
; COMPUTE_PGM_RSRC2:TGID_X_EN: 1
; COMPUTE_PGM_RSRC2:TGID_Y_EN: 0
; COMPUTE_PGM_RSRC2:TGID_Z_EN: 0
; COMPUTE_PGM_RSRC2:TIDIG_COMP_CNT: 0
	.text
	.p2alignl 7, 3214868480
	.fill 96, 4, 3214868480
	.section	.AMDGPU.gpr_maximums,"",@progbits
	.set amdgpu.max_num_vgpr, 0
	.set amdgpu.max_num_agpr, 0
	.set amdgpu.max_num_sgpr, 0
	.text
	.type	__hip_cuid_34166dfb07b43354,@object ; @__hip_cuid_34166dfb07b43354
	.section	.bss,"aw",@nobits
	.globl	__hip_cuid_34166dfb07b43354
__hip_cuid_34166dfb07b43354:
	.byte	0                               ; 0x0
	.size	__hip_cuid_34166dfb07b43354, 1

	.ident	"AMD clang version 22.0.0git (https://github.com/RadeonOpenCompute/llvm-project roc-7.2.4 26084 f58b06dce1f9c15707c5f808fd002e18c2accf7e)"
	.section	".note.GNU-stack","",@progbits
	.addrsig
	.addrsig_sym __hip_cuid_34166dfb07b43354
	.amdgpu_metadata
---
amdhsa.kernels:
  - .args:
      - .actual_access:  read_only
        .address_space:  global
        .offset:         0
        .size:           8
        .value_kind:     global_buffer
      - .offset:         8
        .size:           8
        .value_kind:     by_value
      - .address_space:  global
        .offset:         16
        .size:           8
        .value_kind:     global_buffer
      - .offset:         24
        .size:           1
        .value_kind:     by_value
      - .offset:         32
        .size:           4
        .value_kind:     hidden_block_count_x
      - .offset:         36
        .size:           4
        .value_kind:     hidden_block_count_y
      - .offset:         40
        .size:           4
        .value_kind:     hidden_block_count_z
      - .offset:         44
        .size:           2
        .value_kind:     hidden_group_size_x
      - .offset:         46
        .size:           2
        .value_kind:     hidden_group_size_y
      - .offset:         48
        .size:           2
        .value_kind:     hidden_group_size_z
      - .offset:         50
        .size:           2
        .value_kind:     hidden_remainder_x
      - .offset:         52
        .size:           2
        .value_kind:     hidden_remainder_y
      - .offset:         54
        .size:           2
        .value_kind:     hidden_remainder_z
      - .offset:         72
        .size:           8
        .value_kind:     hidden_global_offset_x
      - .offset:         80
        .size:           8
        .value_kind:     hidden_global_offset_y
      - .offset:         88
        .size:           8
        .value_kind:     hidden_global_offset_z
      - .offset:         96
        .size:           2
        .value_kind:     hidden_grid_dims
    .group_segment_fixed_size: 4096
    .kernarg_segment_align: 8
    .kernarg_segment_size: 288
    .language:       OpenCL C
    .language_version:
      - 2
      - 0
    .max_flat_workgroup_size: 1024
    .name:           check_numerics_fp32
    .private_segment_fixed_size: 0
    .sgpr_count:     16
    .sgpr_spill_count: 0
    .symbol:         check_numerics_fp32.kd
    .uniform_work_group_size: 1
    .uses_dynamic_stack: false
    .vgpr_count:     14
    .vgpr_spill_count: 0
    .wavefront_size: 32
  - .args:
      - .actual_access:  read_only
        .address_space:  global
        .offset:         0
        .size:           8
        .value_kind:     global_buffer
      - .offset:         8
        .size:           8
        .value_kind:     by_value
      - .address_space:  global
        .offset:         16
        .size:           8
        .value_kind:     global_buffer
      - .offset:         24
        .size:           1
        .value_kind:     by_value
      - .offset:         32
        .size:           4
        .value_kind:     hidden_block_count_x
      - .offset:         36
        .size:           4
        .value_kind:     hidden_block_count_y
      - .offset:         40
        .size:           4
        .value_kind:     hidden_block_count_z
      - .offset:         44
        .size:           2
        .value_kind:     hidden_group_size_x
      - .offset:         46
        .size:           2
        .value_kind:     hidden_group_size_y
      - .offset:         48
        .size:           2
        .value_kind:     hidden_group_size_z
      - .offset:         50
        .size:           2
        .value_kind:     hidden_remainder_x
      - .offset:         52
        .size:           2
        .value_kind:     hidden_remainder_y
      - .offset:         54
        .size:           2
        .value_kind:     hidden_remainder_z
      - .offset:         72
        .size:           8
        .value_kind:     hidden_global_offset_x
      - .offset:         80
        .size:           8
        .value_kind:     hidden_global_offset_y
      - .offset:         88
        .size:           8
        .value_kind:     hidden_global_offset_z
      - .offset:         96
        .size:           2
        .value_kind:     hidden_grid_dims
    .group_segment_fixed_size: 4096
    .kernarg_segment_align: 8
    .kernarg_segment_size: 288
    .language:       OpenCL C
    .language_version:
      - 2
      - 0
    .max_flat_workgroup_size: 1024
    .name:           check_numerics_fp16
    .private_segment_fixed_size: 0
    .sgpr_count:     16
    .sgpr_spill_count: 0
    .symbol:         check_numerics_fp16.kd
    .uniform_work_group_size: 1
    .uses_dynamic_stack: false
    .vgpr_count:     14
    .vgpr_spill_count: 0
    .wavefront_size: 32
  - .args:
      - .actual_access:  read_only
        .address_space:  global
        .offset:         0
        .size:           8
        .value_kind:     global_buffer
      - .offset:         8
        .size:           8
        .value_kind:     by_value
      - .address_space:  global
        .offset:         16
        .size:           8
        .value_kind:     global_buffer
      - .offset:         24
        .size:           1
        .value_kind:     by_value
      - .offset:         32
        .size:           4
        .value_kind:     hidden_block_count_x
      - .offset:         36
        .size:           4
        .value_kind:     hidden_block_count_y
      - .offset:         40
        .size:           4
        .value_kind:     hidden_block_count_z
      - .offset:         44
        .size:           2
        .value_kind:     hidden_group_size_x
      - .offset:         46
        .size:           2
        .value_kind:     hidden_group_size_y
      - .offset:         48
        .size:           2
        .value_kind:     hidden_group_size_z
      - .offset:         50
        .size:           2
        .value_kind:     hidden_remainder_x
      - .offset:         52
        .size:           2
        .value_kind:     hidden_remainder_y
      - .offset:         54
        .size:           2
        .value_kind:     hidden_remainder_z
      - .offset:         72
        .size:           8
        .value_kind:     hidden_global_offset_x
      - .offset:         80
        .size:           8
        .value_kind:     hidden_global_offset_y
      - .offset:         88
        .size:           8
        .value_kind:     hidden_global_offset_z
      - .offset:         96
        .size:           2
        .value_kind:     hidden_grid_dims
    .group_segment_fixed_size: 4096
    .kernarg_segment_align: 8
    .kernarg_segment_size: 288
    .language:       OpenCL C
    .language_version:
      - 2
      - 0
    .max_flat_workgroup_size: 1024
    .name:           check_numerics_bf16
    .private_segment_fixed_size: 0
    .sgpr_count:     16
    .sgpr_spill_count: 0
    .symbol:         check_numerics_bf16.kd
    .uniform_work_group_size: 1
    .uses_dynamic_stack: false
    .vgpr_count:     17
    .vgpr_spill_count: 0
    .wavefront_size: 32
  - .args:
      - .actual_access:  read_only
        .address_space:  global
        .offset:         0
        .size:           8
        .value_kind:     global_buffer
      - .offset:         8
        .size:           8
        .value_kind:     by_value
      - .address_space:  global
        .offset:         16
        .size:           8
        .value_kind:     global_buffer
      - .offset:         24
        .size:           1
        .value_kind:     by_value
      - .offset:         32
        .size:           4
        .value_kind:     hidden_block_count_x
      - .offset:         36
        .size:           4
        .value_kind:     hidden_block_count_y
      - .offset:         40
        .size:           4
        .value_kind:     hidden_block_count_z
      - .offset:         44
        .size:           2
        .value_kind:     hidden_group_size_x
      - .offset:         46
        .size:           2
        .value_kind:     hidden_group_size_y
      - .offset:         48
        .size:           2
        .value_kind:     hidden_group_size_z
      - .offset:         50
        .size:           2
        .value_kind:     hidden_remainder_x
      - .offset:         52
        .size:           2
        .value_kind:     hidden_remainder_y
      - .offset:         54
        .size:           2
        .value_kind:     hidden_remainder_z
      - .offset:         72
        .size:           8
        .value_kind:     hidden_global_offset_x
      - .offset:         80
        .size:           8
        .value_kind:     hidden_global_offset_y
      - .offset:         88
        .size:           8
        .value_kind:     hidden_global_offset_z
      - .offset:         96
        .size:           2
        .value_kind:     hidden_grid_dims
    .group_segment_fixed_size: 4096
    .kernarg_segment_align: 8
    .kernarg_segment_size: 288
    .language:       OpenCL C
    .language_version:
      - 2
      - 0
    .max_flat_workgroup_size: 1024
    .name:           check_numerics_fp8
    .private_segment_fixed_size: 0
    .sgpr_count:     19
    .sgpr_spill_count: 0
    .symbol:         check_numerics_fp8.kd
    .uniform_work_group_size: 1
    .uses_dynamic_stack: false
    .vgpr_count:     21
    .vgpr_spill_count: 0
    .wavefront_size: 32
  - .args:
      - .actual_access:  read_only
        .address_space:  global
        .offset:         0
        .size:           8
        .value_kind:     global_buffer
      - .offset:         8
        .size:           8
        .value_kind:     by_value
      - .address_space:  global
        .offset:         16
        .size:           8
        .value_kind:     global_buffer
      - .offset:         24
        .size:           1
        .value_kind:     by_value
      - .offset:         32
        .size:           4
        .value_kind:     hidden_block_count_x
      - .offset:         36
        .size:           4
        .value_kind:     hidden_block_count_y
      - .offset:         40
        .size:           4
        .value_kind:     hidden_block_count_z
      - .offset:         44
        .size:           2
        .value_kind:     hidden_group_size_x
      - .offset:         46
        .size:           2
        .value_kind:     hidden_group_size_y
      - .offset:         48
        .size:           2
        .value_kind:     hidden_group_size_z
      - .offset:         50
        .size:           2
        .value_kind:     hidden_remainder_x
      - .offset:         52
        .size:           2
        .value_kind:     hidden_remainder_y
      - .offset:         54
        .size:           2
        .value_kind:     hidden_remainder_z
      - .offset:         72
        .size:           8
        .value_kind:     hidden_global_offset_x
      - .offset:         80
        .size:           8
        .value_kind:     hidden_global_offset_y
      - .offset:         88
        .size:           8
        .value_kind:     hidden_global_offset_z
      - .offset:         96
        .size:           2
        .value_kind:     hidden_grid_dims
    .group_segment_fixed_size: 4096
    .kernarg_segment_align: 8
    .kernarg_segment_size: 288
    .language:       OpenCL C
    .language_version:
      - 2
      - 0
    .max_flat_workgroup_size: 1024
    .name:           check_numerics_bf8
    .private_segment_fixed_size: 0
    .sgpr_count:     19
    .sgpr_spill_count: 0
    .symbol:         check_numerics_bf8.kd
    .uniform_work_group_size: 1
    .uses_dynamic_stack: false
    .vgpr_count:     21
    .vgpr_spill_count: 0
    .wavefront_size: 32
amdhsa.target:   amdgcn-amd-amdhsa--gfx1250
amdhsa.version:
  - 1
  - 2
...

	.end_amdgpu_metadata
